;; amdgpu-corpus repo=ROCm/rocSPARSE kind=compiled arch=gfx1100 opt=O3
	.text
	.amdgcn_target "amdgcn-amd-amdhsa--gfx1100"
	.amdhsa_code_object_version 6
	.section	.text._ZN9rocsparseL29csrgeam_fill_multipass_kernelILj256ELj32EiifEEvllNS_24const_host_device_scalarIT3_EEPKT1_PKT2_PKS2_S3_S6_S9_SB_S6_PS7_PS2_21rocsparse_index_base_SE_SE_bbb,"axG",@progbits,_ZN9rocsparseL29csrgeam_fill_multipass_kernelILj256ELj32EiifEEvllNS_24const_host_device_scalarIT3_EEPKT1_PKT2_PKS2_S3_S6_S9_SB_S6_PS7_PS2_21rocsparse_index_base_SE_SE_bbb,comdat
	.globl	_ZN9rocsparseL29csrgeam_fill_multipass_kernelILj256ELj32EiifEEvllNS_24const_host_device_scalarIT3_EEPKT1_PKT2_PKS2_S3_S6_S9_SB_S6_PS7_PS2_21rocsparse_index_base_SE_SE_bbb ; -- Begin function _ZN9rocsparseL29csrgeam_fill_multipass_kernelILj256ELj32EiifEEvllNS_24const_host_device_scalarIT3_EEPKT1_PKT2_PKS2_S3_S6_S9_SB_S6_PS7_PS2_21rocsparse_index_base_SE_SE_bbb
	.p2align	8
	.type	_ZN9rocsparseL29csrgeam_fill_multipass_kernelILj256ELj32EiifEEvllNS_24const_host_device_scalarIT3_EEPKT1_PKT2_PKS2_S3_S6_S9_SB_S6_PS7_PS2_21rocsparse_index_base_SE_SE_bbb,@function
_ZN9rocsparseL29csrgeam_fill_multipass_kernelILj256ELj32EiifEEvllNS_24const_host_device_scalarIT3_EEPKT1_PKT2_PKS2_S3_S6_S9_SB_S6_PS7_PS2_21rocsparse_index_base_SE_SE_bbb: ; @_ZN9rocsparseL29csrgeam_fill_multipass_kernelILj256ELj32EiifEEvllNS_24const_host_device_scalarIT3_EEPKT1_PKT2_PKS2_S3_S6_S9_SB_S6_PS7_PS2_21rocsparse_index_base_SE_SE_bbb
; %bb.0:
	s_clause 0x4
	s_load_b128 s[4:7], s[0:1], 0x68
	s_load_b32 s14, s[0:1], 0x74
	s_load_b64 s[2:3], s[0:1], 0x30
	s_load_b128 s[8:11], s[0:1], 0x0
	s_load_b64 s[12:13], s[0:1], 0x10
	s_waitcnt lgkmcnt(0)
	s_bitcmp1_b32 s7, 0
	s_cselect_b32 s16, -1, 0
	s_bitcmp1_b32 s14, 16
	s_cselect_b32 s7, -1, 0
	s_xor_b32 s17, s16, -1
	s_delay_alu instid0(SALU_CYCLE_1) | instskip(NEXT) | instid1(SALU_CYCLE_1)
	s_or_b32 s17, s17, s7
	s_and_b32 vcc_lo, exec_lo, s17
	s_cbranch_vccnz .LBB0_2
; %bb.1:
	s_load_b32 s12, s[12:13], 0x0
	s_waitcnt lgkmcnt(0)
	v_mov_b32_e32 v9, s12
	s_branch .LBB0_3
.LBB0_2:
	v_cndmask_b32_e64 v9, 0, s12, s16
.LBB0_3:
	s_bitcmp1_b32 s14, 8
	s_cselect_b32 s12, -1, 0
	s_delay_alu instid0(SALU_CYCLE_1) | instskip(NEXT) | instid1(SALU_CYCLE_1)
	s_xor_b32 s13, s12, -1
	s_or_b32 s7, s13, s7
	s_delay_alu instid0(SALU_CYCLE_1)
	s_and_b32 vcc_lo, exec_lo, s7
	s_cbranch_vccnz .LBB0_5
; %bb.4:
	s_load_b32 s2, s[2:3], 0x0
	s_waitcnt lgkmcnt(0)
	v_mov_b32_e32 v10, s2
	s_branch .LBB0_6
.LBB0_5:
	v_cndmask_b32_e64 v10, 0, s2, s12
.LBB0_6:
	v_lshrrev_b32_e32 v1, 5, v0
	s_lshl_b32 s2, s15, 3
	v_mov_b32_e32 v2, 0
	s_delay_alu instid0(VALU_DEP_2) | instskip(SKIP_1) | instid1(VALU_DEP_1)
	v_and_or_b32 v1, 0x7fffff8, s2, v1
	s_mov_b32 s2, exec_lo
	v_cmpx_gt_i64_e64 s[8:9], v[1:2]
	s_cbranch_execz .LBB0_35
; %bb.7:
	s_clause 0x2
	s_load_b128 s[12:15], s[0:1], 0x18
	s_load_b64 s[2:3], s[0:1], 0x38
	s_load_b64 s[8:9], s[0:1], 0x50
	v_lshlrev_b32_e32 v5, 2, v1
	s_waitcnt lgkmcnt(0)
	s_clause 0x2
	global_load_b64 v[3:4], v5, s[12:13]
	global_load_b64 v[1:2], v5, s[2:3]
	global_load_b32 v8, v5, s[8:9]
	s_mov_b32 s2, exec_lo
	s_waitcnt vmcnt(2)
	v_cmpx_ge_i32_e64 v3, v4
	s_xor_b32 s2, exec_lo, s2
	s_delay_alu instid0(SALU_CYCLE_1)
	s_or_saveexec_b32 s2, s2
	v_subrev_nc_u32_e32 v5, s4, v3
	v_mov_b32_e32 v3, s10
	s_xor_b32 exec_lo, exec_lo, s2
	s_cbranch_execz .LBB0_9
; %bb.8:
	s_delay_alu instid0(VALU_DEP_2) | instskip(NEXT) | instid1(VALU_DEP_1)
	v_ashrrev_i32_e32 v6, 31, v5
	v_lshlrev_b64 v[6:7], 2, v[5:6]
	s_delay_alu instid0(VALU_DEP_1) | instskip(NEXT) | instid1(VALU_DEP_2)
	v_add_co_u32 v6, vcc_lo, s14, v6
	v_add_co_ci_u32_e32 v7, vcc_lo, s15, v7, vcc_lo
	global_load_b32 v3, v[6:7], off
	s_waitcnt vmcnt(0)
	v_subrev_nc_u32_e32 v3, s4, v3
.LBB0_9:
	s_or_b32 exec_lo, exec_lo, s2
	s_load_b64 s[2:3], s[0:1], 0x40
	s_mov_b32 s7, exec_lo
	s_waitcnt vmcnt(1)
	v_cmpx_ge_i32_e64 v1, v2
	s_xor_b32 s7, exec_lo, s7
	s_delay_alu instid0(SALU_CYCLE_1)
	s_or_saveexec_b32 s7, s7
	s_clause 0x2
	s_load_b128 s[16:19], s[0:1], 0x58
	s_load_b64 s[8:9], s[0:1], 0x48
	s_load_b64 s[12:13], s[0:1], 0x28
	v_mov_b32_e32 v11, s10
	v_subrev_nc_u32_e32 v6, s5, v1
	v_mov_b32_e32 v1, s10
	s_xor_b32 exec_lo, exec_lo, s7
	s_cbranch_execz .LBB0_11
; %bb.10:
	s_delay_alu instid0(VALU_DEP_2) | instskip(NEXT) | instid1(VALU_DEP_1)
	v_ashrrev_i32_e32 v7, 31, v6
	v_lshlrev_b64 v[11:12], 2, v[6:7]
	s_waitcnt lgkmcnt(0)
	s_delay_alu instid0(VALU_DEP_1) | instskip(NEXT) | instid1(VALU_DEP_2)
	v_add_co_u32 v11, vcc_lo, s2, v11
	v_add_co_ci_u32_e32 v12, vcc_lo, s3, v12, vcc_lo
	global_load_b32 v1, v[11:12], off
	v_mov_b32_e32 v11, s10
	s_waitcnt vmcnt(0)
	v_subrev_nc_u32_e32 v1, s5, v1
.LBB0_11:
	s_or_b32 exec_lo, exec_lo, s7
	v_and_b32_e32 v7, 0xe0, v0
	v_subrev_nc_u32_e32 v12, s4, v4
	s_delay_alu instid0(VALU_DEP_3)
	v_min_i32_e32 v4, v1, v3
	v_subrev_nc_u32_e32 v13, s5, v2
	s_waitcnt vmcnt(0)
	v_subrev_nc_u32_e32 v16, s6, v8
	v_or_b32_e32 v14, 0x400, v7
	v_dual_mov_b32 v26, 1 :: v_dual_lshlrev_b32 v15, 2, v7
	v_mbcnt_lo_u32_b32 v7, -1, 0
	v_and_b32_e32 v25, 31, v0
	s_mov_b32 s1, 0
	s_delay_alu instid0(VALU_DEP_2) | instskip(NEXT) | instid1(VALU_DEP_2)
	v_xor_b32_e32 v3, 16, v7
	v_xor_b32_e32 v1, 31, v25
	;; [unrolled: 1-line block ×3, first 2 shown]
	v_add_nc_u32_e32 v2, v6, v25
	v_xor_b32_e32 v6, 2, v7
	v_cmp_gt_i32_e32 vcc_lo, 32, v3
	v_lshrrev_b32_e64 v18, v1, -1
	v_xor_b32_e32 v1, 8, v7
	v_add_nc_u32_e32 v0, v5, v25
	v_xor_b32_e32 v5, 4, v7
	v_cndmask_b32_e32 v3, v7, v3, vcc_lo
	s_delay_alu instid0(VALU_DEP_4) | instskip(NEXT) | instid1(VALU_DEP_2)
	v_cmp_gt_i32_e32 vcc_lo, 32, v1
	v_dual_cndmask_b32 v1, v7, v1 :: v_dual_lshlrev_b32 v20, 2, v3
	s_delay_alu instid0(VALU_DEP_4) | instskip(NEXT) | instid1(VALU_DEP_2)
	v_cmp_gt_i32_e32 vcc_lo, 32, v5
	v_lshlrev_b32_e32 v21, 2, v1
	v_cndmask_b32_e32 v5, v7, v5, vcc_lo
	v_cmp_gt_i32_e32 vcc_lo, 32, v6
	v_cndmask_b32_e32 v6, v7, v6, vcc_lo
	v_cmp_gt_i32_e32 vcc_lo, 32, v8
	v_lshl_or_b32 v17, v25, 2, v15
	v_add_nc_u32_e32 v19, s6, v25
	v_add_nc_u32_e32 v25, v14, v25
	v_lshlrev_b32_e32 v23, 2, v6
	v_dual_cndmask_b32 v7, v7, v8 :: v_dual_mov_b32 v6, 0
	s_delay_alu instid0(VALU_DEP_1)
	v_lshlrev_b32_e32 v24, 2, v7
	v_lshlrev_b32_e32 v22, 2, v5
	s_branch .LBB0_13
.LBB0_12:                               ;   in Loop: Header=BB0_13 Depth=1
	s_or_b32 exec_lo, exec_lo, s6
	ds_bpermute_b32 v1, v20, v27
	s_bcnt1_i32_b32 s6, vcc_lo
	s_delay_alu instid0(SALU_CYCLE_1)
	v_add_nc_u32_e32 v16, s6, v16
	s_waitcnt lgkmcnt(0)
	v_min_i32_e32 v1, v1, v27
	ds_bpermute_b32 v3, v21, v1
	s_waitcnt lgkmcnt(0)
	v_min_i32_e32 v1, v3, v1
	ds_bpermute_b32 v3, v22, v1
	;; [unrolled: 3-line block ×4, first 2 shown]
	s_waitcnt lgkmcnt(0)
	v_min_i32_e32 v4, v3, v1
	s_delay_alu instid0(VALU_DEP_1) | instskip(NEXT) | instid1(VALU_DEP_1)
	v_ashrrev_i32_e32 v5, 31, v4
	v_cmp_le_i64_e64 s0, s[10:11], v[4:5]
	s_delay_alu instid0(VALU_DEP_1) | instskip(NEXT) | instid1(SALU_CYCLE_1)
	s_or_b32 s1, s0, s1
	s_and_not1_b32 exec_lo, exec_lo, s1
	s_cbranch_execz .LBB0_35
.LBB0_13:                               ; =>This Loop Header: Depth=1
                                        ;     Child Loop BB0_16 Depth 2
                                        ;     Child Loop BB0_26 Depth 2
	v_mov_b32_e32 v27, v11
	s_mov_b32 s6, exec_lo
	ds_store_b8 v25, v6
	ds_store_b32 v17, v6
	s_waitcnt lgkmcnt(0)
	buffer_gl0_inv
	v_cmpx_lt_i32_e64 v0, v12
	s_cbranch_execz .LBB0_23
; %bb.14:                               ;   in Loop: Header=BB0_13 Depth=1
	v_mov_b32_e32 v27, v11
	s_mov_b32 s7, 0
	s_branch .LBB0_16
.LBB0_15:                               ;   in Loop: Header=BB0_16 Depth=2
	s_or_b32 exec_lo, exec_lo, s20
	s_delay_alu instid0(SALU_CYCLE_1) | instskip(NEXT) | instid1(SALU_CYCLE_1)
	s_and_b32 s0, exec_lo, s0
	s_or_b32 s7, s0, s7
	s_delay_alu instid0(SALU_CYCLE_1)
	s_and_not1_b32 exec_lo, exec_lo, s7
	s_cbranch_execz .LBB0_22
.LBB0_16:                               ;   Parent Loop BB0_13 Depth=1
                                        ; =>  This Inner Loop Header: Depth=2
	v_ashrrev_i32_e32 v1, 31, v0
	s_delay_alu instid0(VALU_DEP_1) | instskip(NEXT) | instid1(VALU_DEP_1)
	v_lshlrev_b64 v[7:8], 2, v[0:1]
	v_add_co_u32 v28, vcc_lo, s14, v7
	s_delay_alu instid0(VALU_DEP_2) | instskip(SKIP_3) | instid1(VALU_DEP_1)
	v_add_co_ci_u32_e32 v29, vcc_lo, s15, v8, vcc_lo
	global_load_b32 v1, v[28:29], off
	s_waitcnt vmcnt(0)
	v_subrev_nc_u32_e32 v3, s4, v1
	v_sub_nc_u32_e32 v1, v3, v4
	s_delay_alu instid0(VALU_DEP_1) | instskip(SKIP_1) | instid1(VALU_DEP_1)
	v_cmp_gt_u32_e32 vcc_lo, 32, v1
	v_cmp_lt_u32_e64 s0, 31, v1
	s_and_saveexec_b32 s20, s0
	s_delay_alu instid0(SALU_CYCLE_1)
	s_xor_b32 s0, exec_lo, s20
	s_cbranch_execnz .LBB0_19
; %bb.17:                               ;   in Loop: Header=BB0_16 Depth=2
	s_and_not1_saveexec_b32 s20, s0
	s_cbranch_execnz .LBB0_20
.LBB0_18:                               ;   in Loop: Header=BB0_16 Depth=2
	s_or_b32 exec_lo, exec_lo, s20
	s_mov_b32 s0, -1
	s_and_saveexec_b32 s20, vcc_lo
	s_cbranch_execz .LBB0_15
	s_branch .LBB0_21
.LBB0_19:                               ;   in Loop: Header=BB0_16 Depth=2
	v_min_i32_e32 v27, v3, v27
                                        ; implicit-def: $vgpr1
                                        ; implicit-def: $vgpr7_vgpr8
	s_and_not1_saveexec_b32 s20, s0
	s_cbranch_execz .LBB0_18
.LBB0_20:                               ;   in Loop: Header=BB0_16 Depth=2
	v_add_co_u32 v7, s0, s12, v7
	s_delay_alu instid0(VALU_DEP_1)
	v_add_co_ci_u32_e64 v8, s0, s13, v8, s0
	v_add_nc_u32_e32 v5, v14, v1
	v_lshl_add_u32 v1, v1, 2, v15
	global_load_b32 v3, v[7:8], off
	s_waitcnt vmcnt(0)
	v_mul_f32_e32 v3, v9, v3
	ds_store_b8 v5, v26
	ds_store_b32 v1, v3
	s_or_b32 exec_lo, exec_lo, s20
	s_mov_b32 s0, -1
	s_and_saveexec_b32 s20, vcc_lo
	s_cbranch_execz .LBB0_15
.LBB0_21:                               ;   in Loop: Header=BB0_16 Depth=2
	v_add_nc_u32_e32 v0, 32, v0
	s_delay_alu instid0(VALU_DEP_1)
	v_cmp_ge_i32_e32 vcc_lo, v0, v12
	s_or_not1_b32 s0, vcc_lo, exec_lo
	s_branch .LBB0_15
.LBB0_22:                               ;   in Loop: Header=BB0_13 Depth=1
	s_or_b32 exec_lo, exec_lo, s7
.LBB0_23:                               ;   in Loop: Header=BB0_13 Depth=1
	s_delay_alu instid0(SALU_CYCLE_1) | instskip(NEXT) | instid1(SALU_CYCLE_1)
	s_or_b32 exec_lo, exec_lo, s6
	s_mov_b32 s6, exec_lo
	s_waitcnt lgkmcnt(0)
	buffer_gl0_inv
	v_cmpx_lt_i32_e64 v2, v13
	s_cbranch_execz .LBB0_33
; %bb.24:                               ;   in Loop: Header=BB0_13 Depth=1
	s_mov_b32 s7, 0
	s_branch .LBB0_26
.LBB0_25:                               ;   in Loop: Header=BB0_26 Depth=2
	s_or_b32 exec_lo, exec_lo, s20
	s_delay_alu instid0(SALU_CYCLE_1) | instskip(NEXT) | instid1(SALU_CYCLE_1)
	s_and_b32 s0, exec_lo, s0
	s_or_b32 s7, s0, s7
	s_delay_alu instid0(SALU_CYCLE_1)
	s_and_not1_b32 exec_lo, exec_lo, s7
	s_cbranch_execz .LBB0_32
.LBB0_26:                               ;   Parent Loop BB0_13 Depth=1
                                        ; =>  This Inner Loop Header: Depth=2
	v_ashrrev_i32_e32 v3, 31, v2
	s_delay_alu instid0(VALU_DEP_1) | instskip(NEXT) | instid1(VALU_DEP_1)
	v_lshlrev_b64 v[7:8], 2, v[2:3]
	v_add_co_u32 v28, vcc_lo, s2, v7
	s_delay_alu instid0(VALU_DEP_2) | instskip(SKIP_3) | instid1(VALU_DEP_1)
	v_add_co_ci_u32_e32 v29, vcc_lo, s3, v8, vcc_lo
	global_load_b32 v1, v[28:29], off
	s_waitcnt vmcnt(0)
	v_subrev_nc_u32_e32 v3, s5, v1
	v_sub_nc_u32_e32 v1, v3, v4
	s_delay_alu instid0(VALU_DEP_1) | instskip(SKIP_1) | instid1(VALU_DEP_1)
	v_cmp_gt_u32_e32 vcc_lo, 32, v1
	v_cmp_lt_u32_e64 s0, 31, v1
	s_and_saveexec_b32 s20, s0
	s_delay_alu instid0(SALU_CYCLE_1)
	s_xor_b32 s0, exec_lo, s20
	s_cbranch_execnz .LBB0_29
; %bb.27:                               ;   in Loop: Header=BB0_26 Depth=2
	s_and_not1_saveexec_b32 s20, s0
	s_cbranch_execnz .LBB0_30
.LBB0_28:                               ;   in Loop: Header=BB0_26 Depth=2
	s_or_b32 exec_lo, exec_lo, s20
	s_mov_b32 s0, -1
	s_and_saveexec_b32 s20, vcc_lo
	s_cbranch_execz .LBB0_25
	s_branch .LBB0_31
.LBB0_29:                               ;   in Loop: Header=BB0_26 Depth=2
	v_min_i32_e32 v27, v3, v27
                                        ; implicit-def: $vgpr1
                                        ; implicit-def: $vgpr7_vgpr8
	s_and_not1_saveexec_b32 s20, s0
	s_cbranch_execz .LBB0_28
.LBB0_30:                               ;   in Loop: Header=BB0_26 Depth=2
	v_add_co_u32 v7, s0, s8, v7
	s_delay_alu instid0(VALU_DEP_1)
	v_add_co_ci_u32_e64 v8, s0, s9, v8, s0
	v_lshl_add_u32 v5, v1, 2, v15
	v_add_nc_u32_e32 v1, v14, v1
	global_load_b32 v3, v[7:8], off
	ds_load_b32 v7, v5
	s_waitcnt vmcnt(0) lgkmcnt(0)
	v_fmac_f32_e32 v7, v10, v3
	ds_store_b8 v1, v26
	ds_store_b32 v5, v7
	s_or_b32 exec_lo, exec_lo, s20
	s_mov_b32 s0, -1
	s_and_saveexec_b32 s20, vcc_lo
	s_cbranch_execz .LBB0_25
.LBB0_31:                               ;   in Loop: Header=BB0_26 Depth=2
	v_add_nc_u32_e32 v2, 32, v2
	s_delay_alu instid0(VALU_DEP_1)
	v_cmp_ge_i32_e32 vcc_lo, v2, v13
	s_or_not1_b32 s0, vcc_lo, exec_lo
	s_branch .LBB0_25
.LBB0_32:                               ;   in Loop: Header=BB0_13 Depth=1
	s_or_b32 exec_lo, exec_lo, s7
.LBB0_33:                               ;   in Loop: Header=BB0_13 Depth=1
	s_delay_alu instid0(SALU_CYCLE_1)
	s_or_b32 exec_lo, exec_lo, s6
	s_waitcnt lgkmcnt(0)
	buffer_gl0_inv
	ds_load_u8 v1, v25
	s_mov_b32 s6, exec_lo
	s_waitcnt lgkmcnt(0)
	v_and_b32_e32 v3, 1, v1
	v_cmp_ne_u16_e32 vcc_lo, 0, v1
	s_delay_alu instid0(VALU_DEP_2)
	v_cmpx_eq_u32_e32 1, v3
	s_cbranch_execz .LBB0_12
; %bb.34:                               ;   in Loop: Header=BB0_13 Depth=1
	v_and_b32_e32 v1, vcc_lo, v18
	s_delay_alu instid0(VALU_DEP_1) | instskip(NEXT) | instid1(VALU_DEP_1)
	v_bcnt_u32_b32 v1, v1, 0
	v_add3_u32 v5, v16, v1, -1
	ds_load_b32 v1, v17
	v_lshlrev_b64 v[7:8], 2, v[5:6]
	v_add_nc_u32_e32 v5, v19, v4
	s_delay_alu instid0(VALU_DEP_2) | instskip(NEXT) | instid1(VALU_DEP_1)
	v_add_co_u32 v3, s0, s16, v7
	v_add_co_ci_u32_e64 v4, s0, s17, v8, s0
	v_add_co_u32 v7, s0, s18, v7
	s_delay_alu instid0(VALU_DEP_1)
	v_add_co_ci_u32_e64 v8, s0, s19, v8, s0
	global_store_b32 v[3:4], v5, off
	s_waitcnt lgkmcnt(0)
	global_store_b32 v[7:8], v1, off
	s_branch .LBB0_12
.LBB0_35:
	s_nop 0
	s_sendmsg sendmsg(MSG_DEALLOC_VGPRS)
	s_endpgm
	.section	.rodata,"a",@progbits
	.p2align	6, 0x0
	.amdhsa_kernel _ZN9rocsparseL29csrgeam_fill_multipass_kernelILj256ELj32EiifEEvllNS_24const_host_device_scalarIT3_EEPKT1_PKT2_PKS2_S3_S6_S9_SB_S6_PS7_PS2_21rocsparse_index_base_SE_SE_bbb
		.amdhsa_group_segment_fixed_size 1280
		.amdhsa_private_segment_fixed_size 0
		.amdhsa_kernarg_size 120
		.amdhsa_user_sgpr_count 15
		.amdhsa_user_sgpr_dispatch_ptr 0
		.amdhsa_user_sgpr_queue_ptr 0
		.amdhsa_user_sgpr_kernarg_segment_ptr 1
		.amdhsa_user_sgpr_dispatch_id 0
		.amdhsa_user_sgpr_private_segment_size 0
		.amdhsa_wavefront_size32 1
		.amdhsa_uses_dynamic_stack 0
		.amdhsa_enable_private_segment 0
		.amdhsa_system_sgpr_workgroup_id_x 1
		.amdhsa_system_sgpr_workgroup_id_y 0
		.amdhsa_system_sgpr_workgroup_id_z 0
		.amdhsa_system_sgpr_workgroup_info 0
		.amdhsa_system_vgpr_workitem_id 0
		.amdhsa_next_free_vgpr 30
		.amdhsa_next_free_sgpr 21
		.amdhsa_reserve_vcc 1
		.amdhsa_float_round_mode_32 0
		.amdhsa_float_round_mode_16_64 0
		.amdhsa_float_denorm_mode_32 3
		.amdhsa_float_denorm_mode_16_64 3
		.amdhsa_dx10_clamp 1
		.amdhsa_ieee_mode 1
		.amdhsa_fp16_overflow 0
		.amdhsa_workgroup_processor_mode 1
		.amdhsa_memory_ordered 1
		.amdhsa_forward_progress 0
		.amdhsa_shared_vgpr_count 0
		.amdhsa_exception_fp_ieee_invalid_op 0
		.amdhsa_exception_fp_denorm_src 0
		.amdhsa_exception_fp_ieee_div_zero 0
		.amdhsa_exception_fp_ieee_overflow 0
		.amdhsa_exception_fp_ieee_underflow 0
		.amdhsa_exception_fp_ieee_inexact 0
		.amdhsa_exception_int_div_zero 0
	.end_amdhsa_kernel
	.section	.text._ZN9rocsparseL29csrgeam_fill_multipass_kernelILj256ELj32EiifEEvllNS_24const_host_device_scalarIT3_EEPKT1_PKT2_PKS2_S3_S6_S9_SB_S6_PS7_PS2_21rocsparse_index_base_SE_SE_bbb,"axG",@progbits,_ZN9rocsparseL29csrgeam_fill_multipass_kernelILj256ELj32EiifEEvllNS_24const_host_device_scalarIT3_EEPKT1_PKT2_PKS2_S3_S6_S9_SB_S6_PS7_PS2_21rocsparse_index_base_SE_SE_bbb,comdat
.Lfunc_end0:
	.size	_ZN9rocsparseL29csrgeam_fill_multipass_kernelILj256ELj32EiifEEvllNS_24const_host_device_scalarIT3_EEPKT1_PKT2_PKS2_S3_S6_S9_SB_S6_PS7_PS2_21rocsparse_index_base_SE_SE_bbb, .Lfunc_end0-_ZN9rocsparseL29csrgeam_fill_multipass_kernelILj256ELj32EiifEEvllNS_24const_host_device_scalarIT3_EEPKT1_PKT2_PKS2_S3_S6_S9_SB_S6_PS7_PS2_21rocsparse_index_base_SE_SE_bbb
                                        ; -- End function
	.section	.AMDGPU.csdata,"",@progbits
; Kernel info:
; codeLenInByte = 1652
; NumSgprs: 23
; NumVgprs: 30
; ScratchSize: 0
; MemoryBound: 0
; FloatMode: 240
; IeeeMode: 1
; LDSByteSize: 1280 bytes/workgroup (compile time only)
; SGPRBlocks: 2
; VGPRBlocks: 3
; NumSGPRsForWavesPerEU: 23
; NumVGPRsForWavesPerEU: 30
; Occupancy: 16
; WaveLimiterHint : 1
; COMPUTE_PGM_RSRC2:SCRATCH_EN: 0
; COMPUTE_PGM_RSRC2:USER_SGPR: 15
; COMPUTE_PGM_RSRC2:TRAP_HANDLER: 0
; COMPUTE_PGM_RSRC2:TGID_X_EN: 1
; COMPUTE_PGM_RSRC2:TGID_Y_EN: 0
; COMPUTE_PGM_RSRC2:TGID_Z_EN: 0
; COMPUTE_PGM_RSRC2:TIDIG_COMP_CNT: 0
	.section	.text._ZN9rocsparseL29csrgeam_fill_multipass_kernelILj256ELj64EiifEEvllNS_24const_host_device_scalarIT3_EEPKT1_PKT2_PKS2_S3_S6_S9_SB_S6_PS7_PS2_21rocsparse_index_base_SE_SE_bbb,"axG",@progbits,_ZN9rocsparseL29csrgeam_fill_multipass_kernelILj256ELj64EiifEEvllNS_24const_host_device_scalarIT3_EEPKT1_PKT2_PKS2_S3_S6_S9_SB_S6_PS7_PS2_21rocsparse_index_base_SE_SE_bbb,comdat
	.globl	_ZN9rocsparseL29csrgeam_fill_multipass_kernelILj256ELj64EiifEEvllNS_24const_host_device_scalarIT3_EEPKT1_PKT2_PKS2_S3_S6_S9_SB_S6_PS7_PS2_21rocsparse_index_base_SE_SE_bbb ; -- Begin function _ZN9rocsparseL29csrgeam_fill_multipass_kernelILj256ELj64EiifEEvllNS_24const_host_device_scalarIT3_EEPKT1_PKT2_PKS2_S3_S6_S9_SB_S6_PS7_PS2_21rocsparse_index_base_SE_SE_bbb
	.p2align	8
	.type	_ZN9rocsparseL29csrgeam_fill_multipass_kernelILj256ELj64EiifEEvllNS_24const_host_device_scalarIT3_EEPKT1_PKT2_PKS2_S3_S6_S9_SB_S6_PS7_PS2_21rocsparse_index_base_SE_SE_bbb,@function
_ZN9rocsparseL29csrgeam_fill_multipass_kernelILj256ELj64EiifEEvllNS_24const_host_device_scalarIT3_EEPKT1_PKT2_PKS2_S3_S6_S9_SB_S6_PS7_PS2_21rocsparse_index_base_SE_SE_bbb: ; @_ZN9rocsparseL29csrgeam_fill_multipass_kernelILj256ELj64EiifEEvllNS_24const_host_device_scalarIT3_EEPKT1_PKT2_PKS2_S3_S6_S9_SB_S6_PS7_PS2_21rocsparse_index_base_SE_SE_bbb
; %bb.0:
	s_clause 0x4
	s_load_b128 s[4:7], s[0:1], 0x68
	s_load_b32 s14, s[0:1], 0x74
	s_load_b64 s[2:3], s[0:1], 0x30
	s_load_b128 s[8:11], s[0:1], 0x0
	s_load_b64 s[12:13], s[0:1], 0x10
	s_waitcnt lgkmcnt(0)
	s_bitcmp1_b32 s7, 0
	s_cselect_b32 s16, -1, 0
	s_bitcmp1_b32 s14, 16
	s_cselect_b32 s7, -1, 0
	s_xor_b32 s17, s16, -1
	s_delay_alu instid0(SALU_CYCLE_1) | instskip(NEXT) | instid1(SALU_CYCLE_1)
	s_or_b32 s17, s17, s7
	s_and_b32 vcc_lo, exec_lo, s17
	s_cbranch_vccnz .LBB1_2
; %bb.1:
	s_load_b32 s12, s[12:13], 0x0
	s_waitcnt lgkmcnt(0)
	v_mov_b32_e32 v11, s12
	s_branch .LBB1_3
.LBB1_2:
	v_cndmask_b32_e64 v11, 0, s12, s16
.LBB1_3:
	s_bitcmp1_b32 s14, 8
	s_cselect_b32 s12, -1, 0
	s_delay_alu instid0(SALU_CYCLE_1) | instskip(NEXT) | instid1(SALU_CYCLE_1)
	s_xor_b32 s13, s12, -1
	s_or_b32 s7, s13, s7
	s_delay_alu instid0(SALU_CYCLE_1)
	s_and_b32 vcc_lo, exec_lo, s7
	s_cbranch_vccnz .LBB1_5
; %bb.4:
	s_load_b32 s2, s[2:3], 0x0
	s_waitcnt lgkmcnt(0)
	v_mov_b32_e32 v12, s2
	s_branch .LBB1_6
.LBB1_5:
	v_cndmask_b32_e64 v12, 0, s2, s12
.LBB1_6:
	v_lshrrev_b32_e32 v1, 6, v0
	s_lshl_b32 s2, s15, 2
	v_mov_b32_e32 v2, 0
	s_delay_alu instid0(VALU_DEP_2) | instskip(SKIP_1) | instid1(VALU_DEP_1)
	v_and_or_b32 v1, 0x3fffffc, s2, v1
	s_mov_b32 s2, exec_lo
	v_cmpx_gt_i64_e64 s[8:9], v[1:2]
	s_cbranch_execz .LBB1_35
; %bb.7:
	s_clause 0x2
	s_load_b128 s[12:15], s[0:1], 0x18
	s_load_b64 s[2:3], s[0:1], 0x38
	s_load_b64 s[8:9], s[0:1], 0x50
	v_lshlrev_b32_e32 v3, 2, v1
	s_waitcnt lgkmcnt(0)
	s_clause 0x2
	global_load_b64 v[4:5], v3, s[12:13]
	global_load_b64 v[1:2], v3, s[2:3]
	global_load_b32 v6, v3, s[8:9]
	s_mov_b32 s2, exec_lo
	s_waitcnt vmcnt(2)
	v_cmpx_ge_i32_e64 v4, v5
	s_xor_b32 s2, exec_lo, s2
	s_delay_alu instid0(SALU_CYCLE_1)
	s_or_saveexec_b32 s2, s2
	v_subrev_nc_u32_e32 v3, s4, v4
	v_mov_b32_e32 v4, s10
	s_xor_b32 exec_lo, exec_lo, s2
	s_cbranch_execz .LBB1_9
; %bb.8:
	s_delay_alu instid0(VALU_DEP_2) | instskip(NEXT) | instid1(VALU_DEP_1)
	v_ashrrev_i32_e32 v4, 31, v3
	v_lshlrev_b64 v[7:8], 2, v[3:4]
	s_delay_alu instid0(VALU_DEP_1) | instskip(NEXT) | instid1(VALU_DEP_2)
	v_add_co_u32 v7, vcc_lo, s14, v7
	v_add_co_ci_u32_e32 v8, vcc_lo, s15, v8, vcc_lo
	global_load_b32 v4, v[7:8], off
	s_waitcnt vmcnt(0)
	v_subrev_nc_u32_e32 v4, s4, v4
.LBB1_9:
	s_or_b32 exec_lo, exec_lo, s2
	s_load_b64 s[2:3], s[0:1], 0x40
	s_mov_b32 s7, exec_lo
	s_waitcnt vmcnt(1)
	v_cmpx_ge_i32_e64 v1, v2
	s_xor_b32 s7, exec_lo, s7
	s_delay_alu instid0(SALU_CYCLE_1)
	s_or_saveexec_b32 s7, s7
	s_clause 0x2
	s_load_b128 s[16:19], s[0:1], 0x58
	s_load_b64 s[8:9], s[0:1], 0x48
	s_load_b64 s[12:13], s[0:1], 0x28
	v_mov_b32_e32 v13, s10
	v_subrev_nc_u32_e32 v7, s5, v1
	v_mov_b32_e32 v1, s10
	s_xor_b32 exec_lo, exec_lo, s7
	s_cbranch_execz .LBB1_11
; %bb.10:
	s_delay_alu instid0(VALU_DEP_2) | instskip(SKIP_1) | instid1(VALU_DEP_2)
	v_ashrrev_i32_e32 v8, 31, v7
	v_mov_b32_e32 v13, s10
	v_lshlrev_b64 v[8:9], 2, v[7:8]
	s_waitcnt lgkmcnt(0)
	s_delay_alu instid0(VALU_DEP_1) | instskip(NEXT) | instid1(VALU_DEP_2)
	v_add_co_u32 v8, vcc_lo, s2, v8
	v_add_co_ci_u32_e32 v9, vcc_lo, s3, v9, vcc_lo
	global_load_b32 v1, v[8:9], off
	s_waitcnt vmcnt(0)
	v_subrev_nc_u32_e32 v1, s5, v1
.LBB1_11:
	s_or_b32 exec_lo, exec_lo, s7
	v_mbcnt_lo_u32_b32 v10, -1, 0
	v_subrev_nc_u32_e32 v14, s4, v5
	v_subrev_nc_u32_e32 v17, s5, v2
	s_waitcnt vmcnt(0)
	v_subrev_nc_u32_e32 v18, s6, v6
	v_min_i32_e32 v6, v1, v4
	v_or_b32_e32 v5, 32, v10
	v_xor_b32_e32 v21, 1, v10
	v_and_b32_e32 v9, 63, v0
	s_mov_b32 s1, 0
	v_mov_b32_e32 v27, 1
	v_cmp_gt_i32_e32 vcc_lo, 32, v5
	v_and_b32_e32 v8, 0xc0, v0
	v_add_nc_u32_e32 v2, v7, v9
	v_xor_b32_e32 v1, 63, v9
	v_xor_b32_e32 v7, 16, v10
	v_add_nc_u32_e32 v0, v3, v9
	v_cndmask_b32_e32 v3, v10, v5, vcc_lo
	v_or_b32_e32 v15, 0x400, v8
	v_lshrrev_b64 v[4:5], v1, -1
	v_xor_b32_e32 v1, 8, v10
	v_cmp_gt_i32_e32 vcc_lo, 32, v7
	v_lshlrev_b32_e32 v16, 2, v8
	v_lshlrev_b32_e32 v20, 2, v3
	v_xor_b32_e32 v8, 2, v10
	v_cndmask_b32_e32 v3, v10, v7, vcc_lo
	v_xor_b32_e32 v7, 4, v10
	v_cmp_gt_i32_e32 vcc_lo, 32, v1
	v_cndmask_b32_e32 v1, v10, v1, vcc_lo
	s_delay_alu instid0(VALU_DEP_3) | instskip(NEXT) | instid1(VALU_DEP_2)
	v_cmp_gt_i32_e32 vcc_lo, 32, v7
	v_dual_cndmask_b32 v7, v10, v7 :: v_dual_lshlrev_b32 v22, 2, v1
	v_cmp_gt_i32_e32 vcc_lo, 32, v8
	s_delay_alu instid0(VALU_DEP_2)
	v_dual_cndmask_b32 v8, v10, v8 :: v_dual_lshlrev_b32 v23, 2, v7
	v_cmp_gt_i32_e32 vcc_lo, 32, v21
	v_dual_cndmask_b32 v10, v10, v21 :: v_dual_lshlrev_b32 v21, 2, v3
	v_lshl_or_b32 v19, v9, 2, v16
	v_add_nc_u32_e32 v5, s6, v9
	v_lshlrev_b32_e32 v24, 2, v8
	s_delay_alu instid0(VALU_DEP_4)
	v_dual_mov_b32 v8, 0 :: v_dual_lshlrev_b32 v25, 2, v10
	v_add_nc_u32_e32 v26, v15, v9
	s_branch .LBB1_13
.LBB1_12:                               ;   in Loop: Header=BB1_13 Depth=1
	s_or_b32 exec_lo, exec_lo, s6
	ds_bpermute_b32 v1, v20, v28
	s_bcnt1_i32_b32 s6, vcc_lo
	s_delay_alu instid0(SALU_CYCLE_1)
	v_add_nc_u32_e32 v18, s6, v18
	s_waitcnt lgkmcnt(0)
	v_min_i32_e32 v1, v1, v28
	ds_bpermute_b32 v3, v21, v1
	s_waitcnt lgkmcnt(0)
	v_min_i32_e32 v1, v3, v1
	ds_bpermute_b32 v3, v22, v1
	;; [unrolled: 3-line block ×5, first 2 shown]
	s_waitcnt lgkmcnt(0)
	v_min_i32_e32 v6, v3, v1
	s_delay_alu instid0(VALU_DEP_1) | instskip(NEXT) | instid1(VALU_DEP_1)
	v_ashrrev_i32_e32 v7, 31, v6
	v_cmp_le_i64_e64 s0, s[10:11], v[6:7]
	s_delay_alu instid0(VALU_DEP_1) | instskip(NEXT) | instid1(SALU_CYCLE_1)
	s_or_b32 s1, s0, s1
	s_and_not1_b32 exec_lo, exec_lo, s1
	s_cbranch_execz .LBB1_35
.LBB1_13:                               ; =>This Loop Header: Depth=1
                                        ;     Child Loop BB1_16 Depth 2
                                        ;     Child Loop BB1_26 Depth 2
	v_mov_b32_e32 v28, v13
	s_mov_b32 s6, exec_lo
	ds_store_b8 v26, v8
	ds_store_b32 v19, v8
	s_waitcnt lgkmcnt(0)
	buffer_gl0_inv
	v_cmpx_lt_i32_e64 v0, v14
	s_cbranch_execz .LBB1_23
; %bb.14:                               ;   in Loop: Header=BB1_13 Depth=1
	v_mov_b32_e32 v28, v13
	s_mov_b32 s7, 0
	s_branch .LBB1_16
.LBB1_15:                               ;   in Loop: Header=BB1_16 Depth=2
	s_or_b32 exec_lo, exec_lo, s20
	s_delay_alu instid0(SALU_CYCLE_1) | instskip(NEXT) | instid1(SALU_CYCLE_1)
	s_and_b32 s0, exec_lo, s0
	s_or_b32 s7, s0, s7
	s_delay_alu instid0(SALU_CYCLE_1)
	s_and_not1_b32 exec_lo, exec_lo, s7
	s_cbranch_execz .LBB1_22
.LBB1_16:                               ;   Parent Loop BB1_13 Depth=1
                                        ; =>  This Inner Loop Header: Depth=2
	v_ashrrev_i32_e32 v1, 31, v0
	s_delay_alu instid0(VALU_DEP_1) | instskip(NEXT) | instid1(VALU_DEP_1)
	v_lshlrev_b64 v[9:10], 2, v[0:1]
	v_add_co_u32 v29, vcc_lo, s14, v9
	s_delay_alu instid0(VALU_DEP_2) | instskip(SKIP_3) | instid1(VALU_DEP_1)
	v_add_co_ci_u32_e32 v30, vcc_lo, s15, v10, vcc_lo
	global_load_b32 v1, v[29:30], off
	s_waitcnt vmcnt(0)
	v_subrev_nc_u32_e32 v3, s4, v1
	v_sub_nc_u32_e32 v1, v3, v6
	s_delay_alu instid0(VALU_DEP_1) | instskip(SKIP_1) | instid1(VALU_DEP_1)
	v_cmp_gt_u32_e32 vcc_lo, 64, v1
	v_cmp_lt_u32_e64 s0, 63, v1
	s_and_saveexec_b32 s20, s0
	s_delay_alu instid0(SALU_CYCLE_1)
	s_xor_b32 s0, exec_lo, s20
	s_cbranch_execnz .LBB1_19
; %bb.17:                               ;   in Loop: Header=BB1_16 Depth=2
	s_and_not1_saveexec_b32 s20, s0
	s_cbranch_execnz .LBB1_20
.LBB1_18:                               ;   in Loop: Header=BB1_16 Depth=2
	s_or_b32 exec_lo, exec_lo, s20
	s_mov_b32 s0, -1
	s_and_saveexec_b32 s20, vcc_lo
	s_cbranch_execz .LBB1_15
	s_branch .LBB1_21
.LBB1_19:                               ;   in Loop: Header=BB1_16 Depth=2
	v_min_i32_e32 v28, v3, v28
                                        ; implicit-def: $vgpr1
                                        ; implicit-def: $vgpr9_vgpr10
	s_and_not1_saveexec_b32 s20, s0
	s_cbranch_execz .LBB1_18
.LBB1_20:                               ;   in Loop: Header=BB1_16 Depth=2
	v_add_co_u32 v9, s0, s12, v9
	s_delay_alu instid0(VALU_DEP_1)
	v_add_co_ci_u32_e64 v10, s0, s13, v10, s0
	v_add_nc_u32_e32 v7, v15, v1
	v_lshl_add_u32 v1, v1, 2, v16
	global_load_b32 v3, v[9:10], off
	s_waitcnt vmcnt(0)
	v_mul_f32_e32 v3, v11, v3
	ds_store_b8 v7, v27
	ds_store_b32 v1, v3
	s_or_b32 exec_lo, exec_lo, s20
	s_mov_b32 s0, -1
	s_and_saveexec_b32 s20, vcc_lo
	s_cbranch_execz .LBB1_15
.LBB1_21:                               ;   in Loop: Header=BB1_16 Depth=2
	v_add_nc_u32_e32 v0, 64, v0
	s_delay_alu instid0(VALU_DEP_1)
	v_cmp_ge_i32_e32 vcc_lo, v0, v14
	s_or_not1_b32 s0, vcc_lo, exec_lo
	s_branch .LBB1_15
.LBB1_22:                               ;   in Loop: Header=BB1_13 Depth=1
	s_or_b32 exec_lo, exec_lo, s7
.LBB1_23:                               ;   in Loop: Header=BB1_13 Depth=1
	s_delay_alu instid0(SALU_CYCLE_1) | instskip(NEXT) | instid1(SALU_CYCLE_1)
	s_or_b32 exec_lo, exec_lo, s6
	s_mov_b32 s6, exec_lo
	s_waitcnt lgkmcnt(0)
	buffer_gl0_inv
	v_cmpx_lt_i32_e64 v2, v17
	s_cbranch_execz .LBB1_33
; %bb.24:                               ;   in Loop: Header=BB1_13 Depth=1
	s_mov_b32 s7, 0
	s_branch .LBB1_26
.LBB1_25:                               ;   in Loop: Header=BB1_26 Depth=2
	s_or_b32 exec_lo, exec_lo, s20
	s_delay_alu instid0(SALU_CYCLE_1) | instskip(NEXT) | instid1(SALU_CYCLE_1)
	s_and_b32 s0, exec_lo, s0
	s_or_b32 s7, s0, s7
	s_delay_alu instid0(SALU_CYCLE_1)
	s_and_not1_b32 exec_lo, exec_lo, s7
	s_cbranch_execz .LBB1_32
.LBB1_26:                               ;   Parent Loop BB1_13 Depth=1
                                        ; =>  This Inner Loop Header: Depth=2
	v_ashrrev_i32_e32 v3, 31, v2
	s_delay_alu instid0(VALU_DEP_1) | instskip(NEXT) | instid1(VALU_DEP_1)
	v_lshlrev_b64 v[9:10], 2, v[2:3]
	v_add_co_u32 v29, vcc_lo, s2, v9
	s_delay_alu instid0(VALU_DEP_2) | instskip(SKIP_3) | instid1(VALU_DEP_1)
	v_add_co_ci_u32_e32 v30, vcc_lo, s3, v10, vcc_lo
	global_load_b32 v1, v[29:30], off
	s_waitcnt vmcnt(0)
	v_subrev_nc_u32_e32 v3, s5, v1
	v_sub_nc_u32_e32 v1, v3, v6
	s_delay_alu instid0(VALU_DEP_1) | instskip(SKIP_1) | instid1(VALU_DEP_1)
	v_cmp_gt_u32_e32 vcc_lo, 64, v1
	v_cmp_lt_u32_e64 s0, 63, v1
	s_and_saveexec_b32 s20, s0
	s_delay_alu instid0(SALU_CYCLE_1)
	s_xor_b32 s0, exec_lo, s20
	s_cbranch_execnz .LBB1_29
; %bb.27:                               ;   in Loop: Header=BB1_26 Depth=2
	s_and_not1_saveexec_b32 s20, s0
	s_cbranch_execnz .LBB1_30
.LBB1_28:                               ;   in Loop: Header=BB1_26 Depth=2
	s_or_b32 exec_lo, exec_lo, s20
	s_mov_b32 s0, -1
	s_and_saveexec_b32 s20, vcc_lo
	s_cbranch_execz .LBB1_25
	s_branch .LBB1_31
.LBB1_29:                               ;   in Loop: Header=BB1_26 Depth=2
	v_min_i32_e32 v28, v3, v28
                                        ; implicit-def: $vgpr1
                                        ; implicit-def: $vgpr9_vgpr10
	s_and_not1_saveexec_b32 s20, s0
	s_cbranch_execz .LBB1_28
.LBB1_30:                               ;   in Loop: Header=BB1_26 Depth=2
	v_add_co_u32 v9, s0, s8, v9
	s_delay_alu instid0(VALU_DEP_1)
	v_add_co_ci_u32_e64 v10, s0, s9, v10, s0
	v_lshl_add_u32 v7, v1, 2, v16
	v_add_nc_u32_e32 v1, v15, v1
	global_load_b32 v3, v[9:10], off
	ds_load_b32 v9, v7
	s_waitcnt vmcnt(0) lgkmcnt(0)
	v_fmac_f32_e32 v9, v12, v3
	ds_store_b8 v1, v27
	ds_store_b32 v7, v9
	s_or_b32 exec_lo, exec_lo, s20
	s_mov_b32 s0, -1
	s_and_saveexec_b32 s20, vcc_lo
	s_cbranch_execz .LBB1_25
.LBB1_31:                               ;   in Loop: Header=BB1_26 Depth=2
	v_add_nc_u32_e32 v2, 64, v2
	s_delay_alu instid0(VALU_DEP_1)
	v_cmp_ge_i32_e32 vcc_lo, v2, v17
	s_or_not1_b32 s0, vcc_lo, exec_lo
	s_branch .LBB1_25
.LBB1_32:                               ;   in Loop: Header=BB1_13 Depth=1
	s_or_b32 exec_lo, exec_lo, s7
.LBB1_33:                               ;   in Loop: Header=BB1_13 Depth=1
	s_delay_alu instid0(SALU_CYCLE_1)
	s_or_b32 exec_lo, exec_lo, s6
	s_waitcnt lgkmcnt(0)
	buffer_gl0_inv
	ds_load_u8 v1, v26
	s_mov_b32 s6, exec_lo
	s_waitcnt lgkmcnt(0)
	v_and_b32_e32 v3, 1, v1
	v_cmp_ne_u16_e32 vcc_lo, 0, v1
	s_delay_alu instid0(VALU_DEP_2)
	v_cmpx_eq_u32_e32 1, v3
	s_cbranch_execz .LBB1_12
; %bb.34:                               ;   in Loop: Header=BB1_13 Depth=1
	v_and_b32_e32 v1, vcc_lo, v4
	v_add_nc_u32_e32 v3, v5, v6
	s_delay_alu instid0(VALU_DEP_2) | instskip(NEXT) | instid1(VALU_DEP_1)
	v_bcnt_u32_b32 v1, v1, 0
	v_add3_u32 v7, v18, v1, -1
	ds_load_b32 v1, v19
	v_lshlrev_b64 v[9:10], 2, v[7:8]
	s_delay_alu instid0(VALU_DEP_1) | instskip(NEXT) | instid1(VALU_DEP_1)
	v_add_co_u32 v6, s0, s16, v9
	v_add_co_ci_u32_e64 v7, s0, s17, v10, s0
	v_add_co_u32 v9, s0, s18, v9
	s_delay_alu instid0(VALU_DEP_1)
	v_add_co_ci_u32_e64 v10, s0, s19, v10, s0
	global_store_b32 v[6:7], v3, off
	s_waitcnt lgkmcnt(0)
	global_store_b32 v[9:10], v1, off
	s_branch .LBB1_12
.LBB1_35:
	s_nop 0
	s_sendmsg sendmsg(MSG_DEALLOC_VGPRS)
	s_endpgm
	.section	.rodata,"a",@progbits
	.p2align	6, 0x0
	.amdhsa_kernel _ZN9rocsparseL29csrgeam_fill_multipass_kernelILj256ELj64EiifEEvllNS_24const_host_device_scalarIT3_EEPKT1_PKT2_PKS2_S3_S6_S9_SB_S6_PS7_PS2_21rocsparse_index_base_SE_SE_bbb
		.amdhsa_group_segment_fixed_size 1280
		.amdhsa_private_segment_fixed_size 0
		.amdhsa_kernarg_size 120
		.amdhsa_user_sgpr_count 15
		.amdhsa_user_sgpr_dispatch_ptr 0
		.amdhsa_user_sgpr_queue_ptr 0
		.amdhsa_user_sgpr_kernarg_segment_ptr 1
		.amdhsa_user_sgpr_dispatch_id 0
		.amdhsa_user_sgpr_private_segment_size 0
		.amdhsa_wavefront_size32 1
		.amdhsa_uses_dynamic_stack 0
		.amdhsa_enable_private_segment 0
		.amdhsa_system_sgpr_workgroup_id_x 1
		.amdhsa_system_sgpr_workgroup_id_y 0
		.amdhsa_system_sgpr_workgroup_id_z 0
		.amdhsa_system_sgpr_workgroup_info 0
		.amdhsa_system_vgpr_workitem_id 0
		.amdhsa_next_free_vgpr 31
		.amdhsa_next_free_sgpr 21
		.amdhsa_reserve_vcc 1
		.amdhsa_float_round_mode_32 0
		.amdhsa_float_round_mode_16_64 0
		.amdhsa_float_denorm_mode_32 3
		.amdhsa_float_denorm_mode_16_64 3
		.amdhsa_dx10_clamp 1
		.amdhsa_ieee_mode 1
		.amdhsa_fp16_overflow 0
		.amdhsa_workgroup_processor_mode 1
		.amdhsa_memory_ordered 1
		.amdhsa_forward_progress 0
		.amdhsa_shared_vgpr_count 0
		.amdhsa_exception_fp_ieee_invalid_op 0
		.amdhsa_exception_fp_denorm_src 0
		.amdhsa_exception_fp_ieee_div_zero 0
		.amdhsa_exception_fp_ieee_overflow 0
		.amdhsa_exception_fp_ieee_underflow 0
		.amdhsa_exception_fp_ieee_inexact 0
		.amdhsa_exception_int_div_zero 0
	.end_amdhsa_kernel
	.section	.text._ZN9rocsparseL29csrgeam_fill_multipass_kernelILj256ELj64EiifEEvllNS_24const_host_device_scalarIT3_EEPKT1_PKT2_PKS2_S3_S6_S9_SB_S6_PS7_PS2_21rocsparse_index_base_SE_SE_bbb,"axG",@progbits,_ZN9rocsparseL29csrgeam_fill_multipass_kernelILj256ELj64EiifEEvllNS_24const_host_device_scalarIT3_EEPKT1_PKT2_PKS2_S3_S6_S9_SB_S6_PS7_PS2_21rocsparse_index_base_SE_SE_bbb,comdat
.Lfunc_end1:
	.size	_ZN9rocsparseL29csrgeam_fill_multipass_kernelILj256ELj64EiifEEvllNS_24const_host_device_scalarIT3_EEPKT1_PKT2_PKS2_S3_S6_S9_SB_S6_PS7_PS2_21rocsparse_index_base_SE_SE_bbb, .Lfunc_end1-_ZN9rocsparseL29csrgeam_fill_multipass_kernelILj256ELj64EiifEEvllNS_24const_host_device_scalarIT3_EEPKT1_PKT2_PKS2_S3_S6_S9_SB_S6_PS7_PS2_21rocsparse_index_base_SE_SE_bbb
                                        ; -- End function
	.section	.AMDGPU.csdata,"",@progbits
; Kernel info:
; codeLenInByte = 1676
; NumSgprs: 23
; NumVgprs: 31
; ScratchSize: 0
; MemoryBound: 0
; FloatMode: 240
; IeeeMode: 1
; LDSByteSize: 1280 bytes/workgroup (compile time only)
; SGPRBlocks: 2
; VGPRBlocks: 3
; NumSGPRsForWavesPerEU: 23
; NumVGPRsForWavesPerEU: 31
; Occupancy: 16
; WaveLimiterHint : 1
; COMPUTE_PGM_RSRC2:SCRATCH_EN: 0
; COMPUTE_PGM_RSRC2:USER_SGPR: 15
; COMPUTE_PGM_RSRC2:TRAP_HANDLER: 0
; COMPUTE_PGM_RSRC2:TGID_X_EN: 1
; COMPUTE_PGM_RSRC2:TGID_Y_EN: 0
; COMPUTE_PGM_RSRC2:TGID_Z_EN: 0
; COMPUTE_PGM_RSRC2:TIDIG_COMP_CNT: 0
	.section	.text._ZN9rocsparseL29csrgeam_fill_multipass_kernelILj256ELj32ElifEEvllNS_24const_host_device_scalarIT3_EEPKT1_PKT2_PKS2_S3_S6_S9_SB_S6_PS7_PS2_21rocsparse_index_base_SE_SE_bbb,"axG",@progbits,_ZN9rocsparseL29csrgeam_fill_multipass_kernelILj256ELj32ElifEEvllNS_24const_host_device_scalarIT3_EEPKT1_PKT2_PKS2_S3_S6_S9_SB_S6_PS7_PS2_21rocsparse_index_base_SE_SE_bbb,comdat
	.globl	_ZN9rocsparseL29csrgeam_fill_multipass_kernelILj256ELj32ElifEEvllNS_24const_host_device_scalarIT3_EEPKT1_PKT2_PKS2_S3_S6_S9_SB_S6_PS7_PS2_21rocsparse_index_base_SE_SE_bbb ; -- Begin function _ZN9rocsparseL29csrgeam_fill_multipass_kernelILj256ELj32ElifEEvllNS_24const_host_device_scalarIT3_EEPKT1_PKT2_PKS2_S3_S6_S9_SB_S6_PS7_PS2_21rocsparse_index_base_SE_SE_bbb
	.p2align	8
	.type	_ZN9rocsparseL29csrgeam_fill_multipass_kernelILj256ELj32ElifEEvllNS_24const_host_device_scalarIT3_EEPKT1_PKT2_PKS2_S3_S6_S9_SB_S6_PS7_PS2_21rocsparse_index_base_SE_SE_bbb,@function
_ZN9rocsparseL29csrgeam_fill_multipass_kernelILj256ELj32ElifEEvllNS_24const_host_device_scalarIT3_EEPKT1_PKT2_PKS2_S3_S6_S9_SB_S6_PS7_PS2_21rocsparse_index_base_SE_SE_bbb: ; @_ZN9rocsparseL29csrgeam_fill_multipass_kernelILj256ELj32ElifEEvllNS_24const_host_device_scalarIT3_EEPKT1_PKT2_PKS2_S3_S6_S9_SB_S6_PS7_PS2_21rocsparse_index_base_SE_SE_bbb
; %bb.0:
	s_clause 0x4
	s_load_b128 s[4:7], s[0:1], 0x68
	s_load_b32 s14, s[0:1], 0x74
	s_load_b64 s[2:3], s[0:1], 0x30
	s_load_b128 s[8:11], s[0:1], 0x0
	s_load_b64 s[12:13], s[0:1], 0x10
	s_waitcnt lgkmcnt(0)
	s_bitcmp1_b32 s7, 0
	s_cselect_b32 s16, -1, 0
	s_bitcmp1_b32 s14, 16
	s_cselect_b32 s7, -1, 0
	s_xor_b32 s17, s16, -1
	s_delay_alu instid0(SALU_CYCLE_1) | instskip(NEXT) | instid1(SALU_CYCLE_1)
	s_or_b32 s17, s17, s7
	s_and_b32 vcc_lo, exec_lo, s17
	s_cbranch_vccnz .LBB2_2
; %bb.1:
	s_load_b32 s12, s[12:13], 0x0
	s_waitcnt lgkmcnt(0)
	v_mov_b32_e32 v16, s12
	s_branch .LBB2_3
.LBB2_2:
	v_cndmask_b32_e64 v16, 0, s12, s16
.LBB2_3:
	s_bitcmp1_b32 s14, 8
	s_cselect_b32 s12, -1, 0
	s_delay_alu instid0(SALU_CYCLE_1) | instskip(NEXT) | instid1(SALU_CYCLE_1)
	s_xor_b32 s13, s12, -1
	s_or_b32 s7, s13, s7
	s_delay_alu instid0(SALU_CYCLE_1)
	s_and_b32 vcc_lo, exec_lo, s7
	s_cbranch_vccnz .LBB2_5
; %bb.4:
	s_load_b32 s2, s[2:3], 0x0
	s_waitcnt lgkmcnt(0)
	v_mov_b32_e32 v17, s2
	s_branch .LBB2_6
.LBB2_5:
	v_cndmask_b32_e64 v17, 0, s2, s12
.LBB2_6:
	v_lshrrev_b32_e32 v1, 5, v0
	s_lshl_b32 s2, s15, 3
	v_mov_b32_e32 v2, 0
	s_delay_alu instid0(VALU_DEP_2) | instskip(SKIP_1) | instid1(VALU_DEP_1)
	v_and_or_b32 v1, 0x7fffff8, s2, v1
	s_mov_b32 s2, exec_lo
	v_cmpx_gt_i64_e64 s[8:9], v[1:2]
	s_cbranch_execz .LBB2_35
; %bb.7:
	s_clause 0x2
	s_load_b128 s[12:15], s[0:1], 0x18
	s_load_b64 s[2:3], s[0:1], 0x38
	s_load_b64 s[8:9], s[0:1], 0x50
	v_lshlrev_b32_e32 v9, 3, v1
	s_waitcnt lgkmcnt(0)
	s_clause 0x2
	global_load_b128 v[1:4], v9, s[12:13]
	global_load_b128 v[5:8], v9, s[2:3]
	global_load_b64 v[12:13], v9, s[8:9]
	s_waitcnt vmcnt(2)
	v_sub_co_u32 v10, s2, v1, s4
	s_delay_alu instid0(VALU_DEP_1) | instskip(SKIP_3) | instid1(SALU_CYCLE_1)
	v_subrev_co_ci_u32_e64 v11, s2, 0, v2, s2
	s_mov_b32 s2, exec_lo
	v_cmpx_ge_i64_e64 v[1:2], v[3:4]
	s_xor_b32 s2, exec_lo, s2
	s_or_saveexec_b32 s2, s2
	v_mov_b32_e32 v9, s10
	s_xor_b32 exec_lo, exec_lo, s2
	s_cbranch_execz .LBB2_9
; %bb.8:
	v_lshlrev_b64 v[1:2], 2, v[10:11]
	s_delay_alu instid0(VALU_DEP_1) | instskip(NEXT) | instid1(VALU_DEP_2)
	v_add_co_u32 v1, vcc_lo, s14, v1
	v_add_co_ci_u32_e32 v2, vcc_lo, s15, v2, vcc_lo
	global_load_b32 v1, v[1:2], off
	s_waitcnt vmcnt(0)
	v_subrev_nc_u32_e32 v9, s4, v1
.LBB2_9:
	s_or_b32 exec_lo, exec_lo, s2
	s_clause 0x1
	s_load_b128 s[16:19], s[0:1], 0x58
	s_load_b64 s[8:9], s[0:1], 0x40
	s_waitcnt vmcnt(1)
	v_sub_co_u32 v14, s2, v5, s5
	s_delay_alu instid0(VALU_DEP_1) | instskip(SKIP_4) | instid1(SALU_CYCLE_1)
	v_subrev_co_ci_u32_e64 v15, s2, 0, v6, s2
	s_mov_b32 s7, s5
	s_mov_b32 s2, exec_lo
	v_cmpx_ge_i64_e64 v[5:6], v[7:8]
	s_xor_b32 s2, exec_lo, s2
	s_or_saveexec_b32 s20, s2
	s_clause 0x1
	s_load_b64 s[2:3], s[0:1], 0x48
	s_load_b64 s[12:13], s[0:1], 0x28
	v_dual_mov_b32 v18, s10 :: v_dual_mov_b32 v5, s10
	s_xor_b32 exec_lo, exec_lo, s20
	s_cbranch_execz .LBB2_11
; %bb.10:
	v_lshlrev_b64 v[1:2], 2, v[14:15]
	v_mov_b32_e32 v18, s10
	s_waitcnt lgkmcnt(0)
	s_delay_alu instid0(VALU_DEP_2) | instskip(NEXT) | instid1(VALU_DEP_3)
	v_add_co_u32 v1, vcc_lo, s8, v1
	v_add_co_ci_u32_e32 v2, vcc_lo, s9, v2, vcc_lo
	global_load_b32 v1, v[1:2], off
	s_waitcnt vmcnt(0)
	v_subrev_nc_u32_e32 v5, s5, v1
.LBB2_11:
	s_or_b32 exec_lo, exec_lo, s20
	v_dual_mov_b32 v22, 0 :: v_dual_and_b32 v1, 0xe0, v0
	v_and_b32_e32 v29, 31, v0
	s_delay_alu instid0(VALU_DEP_3) | instskip(SKIP_1) | instid1(VALU_DEP_3)
	v_min_i32_e32 v9, v5, v9
	s_mov_b32 s1, 0
	v_or_b32_e32 v19, 0x400, v1
	v_lshlrev_b32_e32 v20, 2, v1
	v_sub_co_u32 v1, vcc_lo, v3, s4
	v_subrev_co_ci_u32_e32 v2, vcc_lo, 0, v4, vcc_lo
	v_sub_co_u32 v3, vcc_lo, v7, s7
	v_subrev_co_ci_u32_e32 v4, vcc_lo, 0, v8, vcc_lo
	s_waitcnt vmcnt(0)
	v_sub_co_u32 v0, vcc_lo, v12, s6
	v_subrev_co_ci_u32_e32 v21, vcc_lo, 0, v13, vcc_lo
	v_add_co_u32 v5, vcc_lo, v10, v29
	v_mbcnt_lo_u32_b32 v10, -1, 0
	v_add_co_ci_u32_e32 v6, vcc_lo, 0, v11, vcc_lo
	v_xor_b32_e32 v11, 31, v29
	v_add_co_u32 v7, vcc_lo, v14, v29
	s_delay_alu instid0(VALU_DEP_4) | instskip(SKIP_1) | instid1(VALU_DEP_4)
	v_xor_b32_e32 v12, 16, v10
	v_add_co_ci_u32_e32 v8, vcc_lo, 0, v15, vcc_lo
	v_lshrrev_b32_e64 v15, v11, -1
	v_xor_b32_e32 v11, 8, v10
	s_delay_alu instid0(VALU_DEP_4)
	v_cmp_gt_i32_e32 vcc_lo, 32, v12
	v_xor_b32_e32 v13, 4, v10
	v_xor_b32_e32 v24, 2, v10
	;; [unrolled: 1-line block ×3, first 2 shown]
	v_mov_b32_e32 v30, 1
	v_cndmask_b32_e32 v12, v10, v12, vcc_lo
	v_cmp_gt_i32_e32 vcc_lo, 32, v11
	v_cndmask_b32_e32 v11, v10, v11, vcc_lo
	v_cmp_gt_i32_e32 vcc_lo, 32, v13
	;; [unrolled: 2-line block ×4, first 2 shown]
	v_cndmask_b32_e32 v10, v10, v25, vcc_lo
	v_lshl_or_b32 v14, v29, 2, v20
	v_add_nc_u32_e32 v23, s6, v29
	v_lshlrev_b32_e32 v25, 2, v11
	v_lshlrev_b32_e32 v24, 2, v12
	;; [unrolled: 1-line block ×5, first 2 shown]
	s_waitcnt lgkmcnt(0)
	s_add_u32 s6, s16, -4
	v_add_nc_u32_e32 v29, v19, v29
	s_addc_u32 s7, s17, -1
	s_add_u32 s16, s18, -4
	s_addc_u32 s17, s19, -1
	s_branch .LBB2_13
.LBB2_12:                               ;   in Loop: Header=BB2_13 Depth=1
	s_or_b32 exec_lo, exec_lo, s18
	ds_bpermute_b32 v9, v24, v31
	s_bcnt1_i32_b32 s0, vcc_lo
	s_delay_alu instid0(SALU_CYCLE_1) | instskip(NEXT) | instid1(VALU_DEP_1)
	v_add_co_u32 v0, s0, v0, s0
	v_add_co_ci_u32_e64 v21, s0, 0, v21, s0
	s_waitcnt lgkmcnt(0)
	v_min_i32_e32 v9, v9, v31
	ds_bpermute_b32 v10, v25, v9
	s_waitcnt lgkmcnt(0)
	v_min_i32_e32 v9, v10, v9
	ds_bpermute_b32 v10, v26, v9
	;; [unrolled: 3-line block ×4, first 2 shown]
	s_waitcnt lgkmcnt(0)
	v_min_i32_e32 v9, v10, v9
	s_delay_alu instid0(VALU_DEP_1) | instskip(NEXT) | instid1(VALU_DEP_1)
	v_ashrrev_i32_e32 v10, 31, v9
	v_cmp_le_i64_e32 vcc_lo, s[10:11], v[9:10]
	s_or_b32 s1, vcc_lo, s1
	s_delay_alu instid0(SALU_CYCLE_1)
	s_and_not1_b32 exec_lo, exec_lo, s1
	s_cbranch_execz .LBB2_35
.LBB2_13:                               ; =>This Loop Header: Depth=1
                                        ;     Child Loop BB2_16 Depth 2
                                        ;     Child Loop BB2_26 Depth 2
	v_mov_b32_e32 v31, v18
	s_mov_b32 s18, exec_lo
	ds_store_b8 v29, v22
	ds_store_b32 v14, v22
	s_waitcnt lgkmcnt(0)
	buffer_gl0_inv
	v_cmpx_lt_i64_e64 v[5:6], v[1:2]
	s_cbranch_execz .LBB2_23
; %bb.14:                               ;   in Loop: Header=BB2_13 Depth=1
	v_lshlrev_b64 v[12:13], 2, v[5:6]
	v_mov_b32_e32 v31, v18
	s_mov_b32 s19, 0
	s_delay_alu instid0(VALU_DEP_2) | instskip(NEXT) | instid1(VALU_DEP_3)
	v_add_co_u32 v10, vcc_lo, s14, v12
	v_add_co_ci_u32_e32 v11, vcc_lo, s15, v13, vcc_lo
	v_add_co_u32 v12, vcc_lo, s12, v12
	v_add_co_ci_u32_e32 v13, vcc_lo, s13, v13, vcc_lo
	s_branch .LBB2_16
.LBB2_15:                               ;   in Loop: Header=BB2_16 Depth=2
	s_or_b32 exec_lo, exec_lo, s20
	s_delay_alu instid0(SALU_CYCLE_1) | instskip(NEXT) | instid1(SALU_CYCLE_1)
	s_and_b32 s0, exec_lo, s0
	s_or_b32 s19, s0, s19
	s_delay_alu instid0(SALU_CYCLE_1)
	s_and_not1_b32 exec_lo, exec_lo, s19
	s_cbranch_execz .LBB2_22
.LBB2_16:                               ;   Parent Loop BB2_13 Depth=1
                                        ; =>  This Inner Loop Header: Depth=2
	global_load_b32 v32, v[10:11], off
	s_waitcnt vmcnt(0)
	v_subrev_nc_u32_e32 v33, s4, v32
	s_delay_alu instid0(VALU_DEP_1) | instskip(NEXT) | instid1(VALU_DEP_1)
	v_sub_nc_u32_e32 v32, v33, v9
	v_cmp_gt_u32_e32 vcc_lo, 32, v32
	v_cmp_lt_u32_e64 s0, 31, v32
	s_delay_alu instid0(VALU_DEP_1) | instskip(NEXT) | instid1(SALU_CYCLE_1)
	s_and_saveexec_b32 s20, s0
	s_xor_b32 s0, exec_lo, s20
	s_cbranch_execnz .LBB2_19
; %bb.17:                               ;   in Loop: Header=BB2_16 Depth=2
	s_and_not1_saveexec_b32 s0, s0
	s_cbranch_execnz .LBB2_20
.LBB2_18:                               ;   in Loop: Header=BB2_16 Depth=2
	s_or_b32 exec_lo, exec_lo, s0
	s_mov_b32 s0, -1
	s_and_saveexec_b32 s20, vcc_lo
	s_cbranch_execz .LBB2_15
	s_branch .LBB2_21
.LBB2_19:                               ;   in Loop: Header=BB2_16 Depth=2
	v_min_i32_e32 v31, v33, v31
                                        ; implicit-def: $vgpr32
	s_and_not1_saveexec_b32 s0, s0
	s_cbranch_execz .LBB2_18
.LBB2_20:                               ;   in Loop: Header=BB2_16 Depth=2
	global_load_b32 v33, v[12:13], off
	v_add_nc_u32_e32 v34, v19, v32
	v_lshl_add_u32 v32, v32, 2, v20
	s_waitcnt vmcnt(0)
	v_mul_f32_e32 v33, v16, v33
	ds_store_b8 v34, v30
	ds_store_b32 v32, v33
	s_or_b32 exec_lo, exec_lo, s0
	s_mov_b32 s0, -1
	s_and_saveexec_b32 s20, vcc_lo
	s_cbranch_execz .LBB2_15
.LBB2_21:                               ;   in Loop: Header=BB2_16 Depth=2
	v_add_co_u32 v5, vcc_lo, v5, 32
	v_add_co_ci_u32_e32 v6, vcc_lo, 0, v6, vcc_lo
	v_add_co_u32 v10, vcc_lo, 0x80, v10
	v_add_co_ci_u32_e32 v11, vcc_lo, 0, v11, vcc_lo
	s_delay_alu instid0(VALU_DEP_3) | instskip(SKIP_1) | instid1(VALU_DEP_1)
	v_cmp_ge_i64_e32 vcc_lo, v[5:6], v[1:2]
	v_add_co_u32 v12, s0, 0x80, v12
	v_add_co_ci_u32_e64 v13, s0, 0, v13, s0
	s_or_not1_b32 s0, vcc_lo, exec_lo
	s_branch .LBB2_15
.LBB2_22:                               ;   in Loop: Header=BB2_13 Depth=1
	s_or_b32 exec_lo, exec_lo, s19
.LBB2_23:                               ;   in Loop: Header=BB2_13 Depth=1
	s_delay_alu instid0(SALU_CYCLE_1) | instskip(NEXT) | instid1(SALU_CYCLE_1)
	s_or_b32 exec_lo, exec_lo, s18
	s_mov_b32 s18, exec_lo
	s_waitcnt lgkmcnt(0)
	buffer_gl0_inv
	v_cmpx_lt_i64_e64 v[7:8], v[3:4]
	s_cbranch_execz .LBB2_33
; %bb.24:                               ;   in Loop: Header=BB2_13 Depth=1
	v_lshlrev_b64 v[12:13], 2, v[7:8]
	s_mov_b32 s19, 0
	s_delay_alu instid0(VALU_DEP_1) | instskip(NEXT) | instid1(VALU_DEP_2)
	v_add_co_u32 v10, vcc_lo, s8, v12
	v_add_co_ci_u32_e32 v11, vcc_lo, s9, v13, vcc_lo
	v_add_co_u32 v12, vcc_lo, s2, v12
	v_add_co_ci_u32_e32 v13, vcc_lo, s3, v13, vcc_lo
	s_branch .LBB2_26
.LBB2_25:                               ;   in Loop: Header=BB2_26 Depth=2
	s_or_b32 exec_lo, exec_lo, s20
	s_delay_alu instid0(SALU_CYCLE_1) | instskip(NEXT) | instid1(SALU_CYCLE_1)
	s_and_b32 s0, exec_lo, s0
	s_or_b32 s19, s0, s19
	s_delay_alu instid0(SALU_CYCLE_1)
	s_and_not1_b32 exec_lo, exec_lo, s19
	s_cbranch_execz .LBB2_32
.LBB2_26:                               ;   Parent Loop BB2_13 Depth=1
                                        ; =>  This Inner Loop Header: Depth=2
	global_load_b32 v32, v[10:11], off
	s_waitcnt vmcnt(0)
	v_subrev_nc_u32_e32 v33, s5, v32
	s_delay_alu instid0(VALU_DEP_1) | instskip(NEXT) | instid1(VALU_DEP_1)
	v_sub_nc_u32_e32 v32, v33, v9
	v_cmp_gt_u32_e32 vcc_lo, 32, v32
	v_cmp_lt_u32_e64 s0, 31, v32
	s_delay_alu instid0(VALU_DEP_1) | instskip(NEXT) | instid1(SALU_CYCLE_1)
	s_and_saveexec_b32 s20, s0
	s_xor_b32 s0, exec_lo, s20
	s_cbranch_execnz .LBB2_29
; %bb.27:                               ;   in Loop: Header=BB2_26 Depth=2
	s_and_not1_saveexec_b32 s0, s0
	s_cbranch_execnz .LBB2_30
.LBB2_28:                               ;   in Loop: Header=BB2_26 Depth=2
	s_or_b32 exec_lo, exec_lo, s0
	s_mov_b32 s0, -1
	s_and_saveexec_b32 s20, vcc_lo
	s_cbranch_execz .LBB2_25
	s_branch .LBB2_31
.LBB2_29:                               ;   in Loop: Header=BB2_26 Depth=2
	v_min_i32_e32 v31, v33, v31
                                        ; implicit-def: $vgpr32
	s_and_not1_saveexec_b32 s0, s0
	s_cbranch_execz .LBB2_28
.LBB2_30:                               ;   in Loop: Header=BB2_26 Depth=2
	global_load_b32 v33, v[12:13], off
	v_lshl_add_u32 v34, v32, 2, v20
	ds_load_b32 v35, v34
	s_waitcnt vmcnt(0) lgkmcnt(0)
	v_dual_fmac_f32 v35, v17, v33 :: v_dual_add_nc_u32 v32, v19, v32
	ds_store_b8 v32, v30
	ds_store_b32 v34, v35
	s_or_b32 exec_lo, exec_lo, s0
	s_mov_b32 s0, -1
	s_and_saveexec_b32 s20, vcc_lo
	s_cbranch_execz .LBB2_25
.LBB2_31:                               ;   in Loop: Header=BB2_26 Depth=2
	v_add_co_u32 v7, vcc_lo, v7, 32
	v_add_co_ci_u32_e32 v8, vcc_lo, 0, v8, vcc_lo
	v_add_co_u32 v10, vcc_lo, 0x80, v10
	v_add_co_ci_u32_e32 v11, vcc_lo, 0, v11, vcc_lo
	s_delay_alu instid0(VALU_DEP_3) | instskip(SKIP_1) | instid1(VALU_DEP_1)
	v_cmp_ge_i64_e32 vcc_lo, v[7:8], v[3:4]
	v_add_co_u32 v12, s0, 0x80, v12
	v_add_co_ci_u32_e64 v13, s0, 0, v13, s0
	s_or_not1_b32 s0, vcc_lo, exec_lo
	s_branch .LBB2_25
.LBB2_32:                               ;   in Loop: Header=BB2_13 Depth=1
	s_or_b32 exec_lo, exec_lo, s19
.LBB2_33:                               ;   in Loop: Header=BB2_13 Depth=1
	s_delay_alu instid0(SALU_CYCLE_1)
	s_or_b32 exec_lo, exec_lo, s18
	s_waitcnt lgkmcnt(0)
	buffer_gl0_inv
	ds_load_u8 v10, v29
	s_mov_b32 s18, exec_lo
	s_waitcnt lgkmcnt(0)
	v_and_b32_e32 v11, 1, v10
	v_cmp_ne_u16_e32 vcc_lo, 0, v10
	s_delay_alu instid0(VALU_DEP_2)
	v_cmpx_eq_u32_e32 1, v11
	s_cbranch_execz .LBB2_12
; %bb.34:                               ;   in Loop: Header=BB2_13 Depth=1
	v_and_b32_e32 v10, vcc_lo, v15
	ds_load_b32 v32, v14
	v_add_nc_u32_e32 v33, v23, v9
	v_bcnt_u32_b32 v10, v10, 0
	s_delay_alu instid0(VALU_DEP_1) | instskip(NEXT) | instid1(VALU_DEP_1)
	v_add_co_u32 v10, s0, v0, v10
	v_add_co_ci_u32_e64 v11, s0, 0, v21, s0
	s_delay_alu instid0(VALU_DEP_1) | instskip(NEXT) | instid1(VALU_DEP_1)
	v_lshlrev_b64 v[10:11], 2, v[10:11]
	v_add_co_u32 v12, s0, s6, v10
	s_delay_alu instid0(VALU_DEP_1) | instskip(SKIP_1) | instid1(VALU_DEP_1)
	v_add_co_ci_u32_e64 v13, s0, s7, v11, s0
	v_add_co_u32 v9, s0, s16, v10
	v_add_co_ci_u32_e64 v10, s0, s17, v11, s0
	global_store_b32 v[12:13], v33, off
	s_waitcnt lgkmcnt(0)
	global_store_b32 v[9:10], v32, off
	s_branch .LBB2_12
.LBB2_35:
	s_nop 0
	s_sendmsg sendmsg(MSG_DEALLOC_VGPRS)
	s_endpgm
	.section	.rodata,"a",@progbits
	.p2align	6, 0x0
	.amdhsa_kernel _ZN9rocsparseL29csrgeam_fill_multipass_kernelILj256ELj32ElifEEvllNS_24const_host_device_scalarIT3_EEPKT1_PKT2_PKS2_S3_S6_S9_SB_S6_PS7_PS2_21rocsparse_index_base_SE_SE_bbb
		.amdhsa_group_segment_fixed_size 1280
		.amdhsa_private_segment_fixed_size 0
		.amdhsa_kernarg_size 120
		.amdhsa_user_sgpr_count 15
		.amdhsa_user_sgpr_dispatch_ptr 0
		.amdhsa_user_sgpr_queue_ptr 0
		.amdhsa_user_sgpr_kernarg_segment_ptr 1
		.amdhsa_user_sgpr_dispatch_id 0
		.amdhsa_user_sgpr_private_segment_size 0
		.amdhsa_wavefront_size32 1
		.amdhsa_uses_dynamic_stack 0
		.amdhsa_enable_private_segment 0
		.amdhsa_system_sgpr_workgroup_id_x 1
		.amdhsa_system_sgpr_workgroup_id_y 0
		.amdhsa_system_sgpr_workgroup_id_z 0
		.amdhsa_system_sgpr_workgroup_info 0
		.amdhsa_system_vgpr_workitem_id 0
		.amdhsa_next_free_vgpr 36
		.amdhsa_next_free_sgpr 21
		.amdhsa_reserve_vcc 1
		.amdhsa_float_round_mode_32 0
		.amdhsa_float_round_mode_16_64 0
		.amdhsa_float_denorm_mode_32 3
		.amdhsa_float_denorm_mode_16_64 3
		.amdhsa_dx10_clamp 1
		.amdhsa_ieee_mode 1
		.amdhsa_fp16_overflow 0
		.amdhsa_workgroup_processor_mode 1
		.amdhsa_memory_ordered 1
		.amdhsa_forward_progress 0
		.amdhsa_shared_vgpr_count 0
		.amdhsa_exception_fp_ieee_invalid_op 0
		.amdhsa_exception_fp_denorm_src 0
		.amdhsa_exception_fp_ieee_div_zero 0
		.amdhsa_exception_fp_ieee_overflow 0
		.amdhsa_exception_fp_ieee_underflow 0
		.amdhsa_exception_fp_ieee_inexact 0
		.amdhsa_exception_int_div_zero 0
	.end_amdhsa_kernel
	.section	.text._ZN9rocsparseL29csrgeam_fill_multipass_kernelILj256ELj32ElifEEvllNS_24const_host_device_scalarIT3_EEPKT1_PKT2_PKS2_S3_S6_S9_SB_S6_PS7_PS2_21rocsparse_index_base_SE_SE_bbb,"axG",@progbits,_ZN9rocsparseL29csrgeam_fill_multipass_kernelILj256ELj32ElifEEvllNS_24const_host_device_scalarIT3_EEPKT1_PKT2_PKS2_S3_S6_S9_SB_S6_PS7_PS2_21rocsparse_index_base_SE_SE_bbb,comdat
.Lfunc_end2:
	.size	_ZN9rocsparseL29csrgeam_fill_multipass_kernelILj256ELj32ElifEEvllNS_24const_host_device_scalarIT3_EEPKT1_PKT2_PKS2_S3_S6_S9_SB_S6_PS7_PS2_21rocsparse_index_base_SE_SE_bbb, .Lfunc_end2-_ZN9rocsparseL29csrgeam_fill_multipass_kernelILj256ELj32ElifEEvllNS_24const_host_device_scalarIT3_EEPKT1_PKT2_PKS2_S3_S6_S9_SB_S6_PS7_PS2_21rocsparse_index_base_SE_SE_bbb
                                        ; -- End function
	.section	.AMDGPU.csdata,"",@progbits
; Kernel info:
; codeLenInByte = 1792
; NumSgprs: 23
; NumVgprs: 36
; ScratchSize: 0
; MemoryBound: 0
; FloatMode: 240
; IeeeMode: 1
; LDSByteSize: 1280 bytes/workgroup (compile time only)
; SGPRBlocks: 2
; VGPRBlocks: 4
; NumSGPRsForWavesPerEU: 23
; NumVGPRsForWavesPerEU: 36
; Occupancy: 16
; WaveLimiterHint : 1
; COMPUTE_PGM_RSRC2:SCRATCH_EN: 0
; COMPUTE_PGM_RSRC2:USER_SGPR: 15
; COMPUTE_PGM_RSRC2:TRAP_HANDLER: 0
; COMPUTE_PGM_RSRC2:TGID_X_EN: 1
; COMPUTE_PGM_RSRC2:TGID_Y_EN: 0
; COMPUTE_PGM_RSRC2:TGID_Z_EN: 0
; COMPUTE_PGM_RSRC2:TIDIG_COMP_CNT: 0
	.section	.text._ZN9rocsparseL29csrgeam_fill_multipass_kernelILj256ELj64ElifEEvllNS_24const_host_device_scalarIT3_EEPKT1_PKT2_PKS2_S3_S6_S9_SB_S6_PS7_PS2_21rocsparse_index_base_SE_SE_bbb,"axG",@progbits,_ZN9rocsparseL29csrgeam_fill_multipass_kernelILj256ELj64ElifEEvllNS_24const_host_device_scalarIT3_EEPKT1_PKT2_PKS2_S3_S6_S9_SB_S6_PS7_PS2_21rocsparse_index_base_SE_SE_bbb,comdat
	.globl	_ZN9rocsparseL29csrgeam_fill_multipass_kernelILj256ELj64ElifEEvllNS_24const_host_device_scalarIT3_EEPKT1_PKT2_PKS2_S3_S6_S9_SB_S6_PS7_PS2_21rocsparse_index_base_SE_SE_bbb ; -- Begin function _ZN9rocsparseL29csrgeam_fill_multipass_kernelILj256ELj64ElifEEvllNS_24const_host_device_scalarIT3_EEPKT1_PKT2_PKS2_S3_S6_S9_SB_S6_PS7_PS2_21rocsparse_index_base_SE_SE_bbb
	.p2align	8
	.type	_ZN9rocsparseL29csrgeam_fill_multipass_kernelILj256ELj64ElifEEvllNS_24const_host_device_scalarIT3_EEPKT1_PKT2_PKS2_S3_S6_S9_SB_S6_PS7_PS2_21rocsparse_index_base_SE_SE_bbb,@function
_ZN9rocsparseL29csrgeam_fill_multipass_kernelILj256ELj64ElifEEvllNS_24const_host_device_scalarIT3_EEPKT1_PKT2_PKS2_S3_S6_S9_SB_S6_PS7_PS2_21rocsparse_index_base_SE_SE_bbb: ; @_ZN9rocsparseL29csrgeam_fill_multipass_kernelILj256ELj64ElifEEvllNS_24const_host_device_scalarIT3_EEPKT1_PKT2_PKS2_S3_S6_S9_SB_S6_PS7_PS2_21rocsparse_index_base_SE_SE_bbb
; %bb.0:
	s_clause 0x4
	s_load_b128 s[4:7], s[0:1], 0x68
	s_load_b32 s14, s[0:1], 0x74
	s_load_b64 s[2:3], s[0:1], 0x30
	s_load_b128 s[8:11], s[0:1], 0x0
	s_load_b64 s[12:13], s[0:1], 0x10
	s_waitcnt lgkmcnt(0)
	s_bitcmp1_b32 s7, 0
	s_cselect_b32 s16, -1, 0
	s_bitcmp1_b32 s14, 16
	s_cselect_b32 s7, -1, 0
	s_xor_b32 s17, s16, -1
	s_delay_alu instid0(SALU_CYCLE_1) | instskip(NEXT) | instid1(SALU_CYCLE_1)
	s_or_b32 s17, s17, s7
	s_and_b32 vcc_lo, exec_lo, s17
	s_cbranch_vccnz .LBB3_2
; %bb.1:
	s_load_b32 s12, s[12:13], 0x0
	s_waitcnt lgkmcnt(0)
	v_mov_b32_e32 v16, s12
	s_branch .LBB3_3
.LBB3_2:
	v_cndmask_b32_e64 v16, 0, s12, s16
.LBB3_3:
	s_bitcmp1_b32 s14, 8
	s_cselect_b32 s12, -1, 0
	s_delay_alu instid0(SALU_CYCLE_1) | instskip(NEXT) | instid1(SALU_CYCLE_1)
	s_xor_b32 s13, s12, -1
	s_or_b32 s7, s13, s7
	s_delay_alu instid0(SALU_CYCLE_1)
	s_and_b32 vcc_lo, exec_lo, s7
	s_cbranch_vccnz .LBB3_5
; %bb.4:
	s_load_b32 s2, s[2:3], 0x0
	s_waitcnt lgkmcnt(0)
	v_mov_b32_e32 v17, s2
	s_branch .LBB3_6
.LBB3_5:
	v_cndmask_b32_e64 v17, 0, s2, s12
.LBB3_6:
	v_lshrrev_b32_e32 v1, 6, v0
	s_lshl_b32 s2, s15, 2
	v_mov_b32_e32 v2, 0
	s_delay_alu instid0(VALU_DEP_2) | instskip(SKIP_1) | instid1(VALU_DEP_1)
	v_and_or_b32 v1, 0x3fffffc, s2, v1
	s_mov_b32 s2, exec_lo
	v_cmpx_gt_i64_e64 s[8:9], v[1:2]
	s_cbranch_execz .LBB3_35
; %bb.7:
	s_clause 0x2
	s_load_b128 s[12:15], s[0:1], 0x18
	s_load_b64 s[2:3], s[0:1], 0x38
	s_load_b64 s[8:9], s[0:1], 0x50
	v_lshlrev_b32_e32 v9, 3, v1
	s_waitcnt lgkmcnt(0)
	s_clause 0x2
	global_load_b128 v[1:4], v9, s[12:13]
	global_load_b128 v[5:8], v9, s[2:3]
	global_load_b64 v[12:13], v9, s[8:9]
	s_waitcnt vmcnt(2)
	v_sub_co_u32 v10, s2, v1, s4
	s_delay_alu instid0(VALU_DEP_1) | instskip(SKIP_3) | instid1(SALU_CYCLE_1)
	v_subrev_co_ci_u32_e64 v11, s2, 0, v2, s2
	s_mov_b32 s2, exec_lo
	v_cmpx_ge_i64_e64 v[1:2], v[3:4]
	s_xor_b32 s2, exec_lo, s2
	s_or_saveexec_b32 s2, s2
	v_mov_b32_e32 v9, s10
	s_xor_b32 exec_lo, exec_lo, s2
	s_cbranch_execz .LBB3_9
; %bb.8:
	v_lshlrev_b64 v[1:2], 2, v[10:11]
	s_delay_alu instid0(VALU_DEP_1) | instskip(NEXT) | instid1(VALU_DEP_2)
	v_add_co_u32 v1, vcc_lo, s14, v1
	v_add_co_ci_u32_e32 v2, vcc_lo, s15, v2, vcc_lo
	global_load_b32 v1, v[1:2], off
	s_waitcnt vmcnt(0)
	v_subrev_nc_u32_e32 v9, s4, v1
.LBB3_9:
	s_or_b32 exec_lo, exec_lo, s2
	s_clause 0x1
	s_load_b128 s[16:19], s[0:1], 0x58
	s_load_b64 s[8:9], s[0:1], 0x40
	s_waitcnt vmcnt(1)
	v_sub_co_u32 v14, s2, v5, s5
	s_delay_alu instid0(VALU_DEP_1) | instskip(SKIP_4) | instid1(SALU_CYCLE_1)
	v_subrev_co_ci_u32_e64 v15, s2, 0, v6, s2
	s_mov_b32 s7, s5
	s_mov_b32 s2, exec_lo
	v_cmpx_ge_i64_e64 v[5:6], v[7:8]
	s_xor_b32 s2, exec_lo, s2
	s_or_saveexec_b32 s20, s2
	s_clause 0x1
	s_load_b64 s[2:3], s[0:1], 0x48
	s_load_b64 s[12:13], s[0:1], 0x28
	v_dual_mov_b32 v18, s10 :: v_dual_mov_b32 v5, s10
	s_xor_b32 exec_lo, exec_lo, s20
	s_cbranch_execz .LBB3_11
; %bb.10:
	v_lshlrev_b64 v[1:2], 2, v[14:15]
	v_mov_b32_e32 v18, s10
	s_waitcnt lgkmcnt(0)
	s_delay_alu instid0(VALU_DEP_2) | instskip(NEXT) | instid1(VALU_DEP_3)
	v_add_co_u32 v1, vcc_lo, s8, v1
	v_add_co_ci_u32_e32 v2, vcc_lo, s9, v2, vcc_lo
	global_load_b32 v1, v[1:2], off
	s_waitcnt vmcnt(0)
	v_subrev_nc_u32_e32 v5, s5, v1
.LBB3_11:
	s_or_b32 exec_lo, exec_lo, s20
	v_and_b32_e32 v1, 0xc0, v0
	v_mbcnt_lo_u32_b32 v26, -1, 0
	s_delay_alu instid0(VALU_DEP_3)
	v_min_i32_e32 v9, v5, v9
	s_mov_b32 s1, 0
	v_mov_b32_e32 v32, 1
	v_or_b32_e32 v19, 0x400, v1
	v_lshlrev_b32_e32 v20, 2, v1
	v_sub_co_u32 v1, vcc_lo, v3, s4
	v_subrev_co_ci_u32_e32 v2, vcc_lo, 0, v4, vcc_lo
	v_sub_co_u32 v3, vcc_lo, v7, s7
	v_subrev_co_ci_u32_e32 v4, vcc_lo, 0, v8, vcc_lo
	s_waitcnt vmcnt(0)
	v_sub_co_u32 v21, vcc_lo, v12, s6
	v_subrev_co_ci_u32_e32 v22, vcc_lo, 0, v13, vcc_lo
	v_and_b32_e32 v13, 63, v0
	v_xor_b32_e32 v27, 1, v26
	v_mov_b32_e32 v0, 0
	s_delay_alu instid0(VALU_DEP_3) | instskip(SKIP_4) | instid1(VALU_DEP_4)
	v_add_co_u32 v5, vcc_lo, v10, v13
	v_or_b32_e32 v10, 32, v26
	v_add_co_ci_u32_e32 v6, vcc_lo, 0, v11, vcc_lo
	v_add_co_u32 v7, vcc_lo, v14, v13
	v_add_co_ci_u32_e32 v8, vcc_lo, 0, v15, vcc_lo
	v_cmp_gt_i32_e32 vcc_lo, 32, v10
	v_xor_b32_e32 v14, 16, v26
	v_xor_b32_e32 v15, 2, v26
	v_cndmask_b32_e32 v10, v26, v10, vcc_lo
	v_xor_b32_e32 v11, 63, v13
	s_delay_alu instid0(VALU_DEP_4)
	v_cmp_gt_i32_e32 vcc_lo, 32, v14
	v_add_nc_u32_e32 v24, s6, v13
	s_waitcnt lgkmcnt(0)
	s_add_u32 s6, s16, -4
	v_lshlrev_b32_e32 v25, 2, v10
	v_xor_b32_e32 v10, 8, v26
	v_lshrrev_b64 v[11:12], v11, -1
	v_cndmask_b32_e32 v12, v26, v14, vcc_lo
	v_xor_b32_e32 v14, 4, v26
	v_add_nc_u32_e32 v31, v19, v13
	v_cmp_gt_i32_e32 vcc_lo, 32, v10
	s_addc_u32 s7, s17, -1
	s_add_u32 s16, s18, -4
	s_addc_u32 s17, s19, -1
	v_cndmask_b32_e32 v10, v26, v10, vcc_lo
	v_cmp_gt_i32_e32 vcc_lo, 32, v14
	v_cndmask_b32_e32 v14, v26, v14, vcc_lo
	v_cmp_gt_i32_e32 vcc_lo, 32, v15
	s_delay_alu instid0(VALU_DEP_2) | instskip(SKIP_2) | instid1(VALU_DEP_3)
	v_dual_cndmask_b32 v15, v26, v15 :: v_dual_lshlrev_b32 v28, 2, v14
	v_cmp_gt_i32_e32 vcc_lo, 32, v27
	v_lshl_or_b32 v23, v13, 2, v20
	v_lshlrev_b32_e32 v29, 2, v15
	v_cndmask_b32_e32 v30, v26, v27, vcc_lo
	v_lshlrev_b32_e32 v26, 2, v12
	v_lshlrev_b32_e32 v27, 2, v10
	s_delay_alu instid0(VALU_DEP_3)
	v_lshlrev_b32_e32 v30, 2, v30
	s_branch .LBB3_13
.LBB3_12:                               ;   in Loop: Header=BB3_13 Depth=1
	s_or_b32 exec_lo, exec_lo, s18
	ds_bpermute_b32 v9, v25, v10
	s_bcnt1_i32_b32 s0, vcc_lo
	s_delay_alu instid0(SALU_CYCLE_1) | instskip(NEXT) | instid1(VALU_DEP_1)
	v_add_co_u32 v21, s0, s0, v21
	v_add_co_ci_u32_e64 v22, s0, 0, v22, s0
	s_waitcnt lgkmcnt(0)
	v_min_i32_e32 v9, v9, v10
	ds_bpermute_b32 v10, v26, v9
	s_waitcnt lgkmcnt(0)
	v_min_i32_e32 v9, v10, v9
	ds_bpermute_b32 v10, v27, v9
	s_waitcnt lgkmcnt(0)
	v_min_i32_e32 v9, v10, v9
	ds_bpermute_b32 v10, v28, v9
	s_waitcnt lgkmcnt(0)
	v_min_i32_e32 v9, v10, v9
	ds_bpermute_b32 v10, v29, v9
	s_waitcnt lgkmcnt(0)
	v_min_i32_e32 v9, v10, v9
	ds_bpermute_b32 v10, v30, v9
	s_waitcnt lgkmcnt(0)
	v_min_i32_e32 v9, v10, v9
	s_delay_alu instid0(VALU_DEP_1) | instskip(NEXT) | instid1(VALU_DEP_1)
	v_ashrrev_i32_e32 v10, 31, v9
	v_cmp_le_i64_e32 vcc_lo, s[10:11], v[9:10]
	s_or_b32 s1, vcc_lo, s1
	s_delay_alu instid0(SALU_CYCLE_1)
	s_and_not1_b32 exec_lo, exec_lo, s1
	s_cbranch_execz .LBB3_35
.LBB3_13:                               ; =>This Loop Header: Depth=1
                                        ;     Child Loop BB3_16 Depth 2
                                        ;     Child Loop BB3_26 Depth 2
	v_mov_b32_e32 v10, v18
	s_mov_b32 s18, exec_lo
	ds_store_b8 v31, v0
	ds_store_b32 v23, v0
	s_waitcnt lgkmcnt(0)
	buffer_gl0_inv
	v_cmpx_lt_i64_e64 v[5:6], v[1:2]
	s_cbranch_execz .LBB3_23
; %bb.14:                               ;   in Loop: Header=BB3_13 Depth=1
	v_lshlrev_b64 v[14:15], 2, v[5:6]
	v_mov_b32_e32 v10, v18
	s_mov_b32 s19, 0
	s_delay_alu instid0(VALU_DEP_2) | instskip(NEXT) | instid1(VALU_DEP_3)
	v_add_co_u32 v12, vcc_lo, s14, v14
	v_add_co_ci_u32_e32 v13, vcc_lo, s15, v15, vcc_lo
	v_add_co_u32 v14, vcc_lo, s12, v14
	v_add_co_ci_u32_e32 v15, vcc_lo, s13, v15, vcc_lo
	s_branch .LBB3_16
.LBB3_15:                               ;   in Loop: Header=BB3_16 Depth=2
	s_or_b32 exec_lo, exec_lo, s20
	s_delay_alu instid0(SALU_CYCLE_1) | instskip(NEXT) | instid1(SALU_CYCLE_1)
	s_and_b32 s0, exec_lo, s0
	s_or_b32 s19, s0, s19
	s_delay_alu instid0(SALU_CYCLE_1)
	s_and_not1_b32 exec_lo, exec_lo, s19
	s_cbranch_execz .LBB3_22
.LBB3_16:                               ;   Parent Loop BB3_13 Depth=1
                                        ; =>  This Inner Loop Header: Depth=2
	global_load_b32 v33, v[12:13], off
	s_waitcnt vmcnt(0)
	v_subrev_nc_u32_e32 v34, s4, v33
	s_delay_alu instid0(VALU_DEP_1) | instskip(NEXT) | instid1(VALU_DEP_1)
	v_sub_nc_u32_e32 v33, v34, v9
	v_cmp_gt_u32_e32 vcc_lo, 64, v33
	v_cmp_lt_u32_e64 s0, 63, v33
	s_delay_alu instid0(VALU_DEP_1) | instskip(NEXT) | instid1(SALU_CYCLE_1)
	s_and_saveexec_b32 s20, s0
	s_xor_b32 s0, exec_lo, s20
	s_cbranch_execnz .LBB3_19
; %bb.17:                               ;   in Loop: Header=BB3_16 Depth=2
	s_and_not1_saveexec_b32 s0, s0
	s_cbranch_execnz .LBB3_20
.LBB3_18:                               ;   in Loop: Header=BB3_16 Depth=2
	s_or_b32 exec_lo, exec_lo, s0
	s_mov_b32 s0, -1
	s_and_saveexec_b32 s20, vcc_lo
	s_cbranch_execz .LBB3_15
	s_branch .LBB3_21
.LBB3_19:                               ;   in Loop: Header=BB3_16 Depth=2
	v_min_i32_e32 v10, v34, v10
                                        ; implicit-def: $vgpr33
	s_and_not1_saveexec_b32 s0, s0
	s_cbranch_execz .LBB3_18
.LBB3_20:                               ;   in Loop: Header=BB3_16 Depth=2
	global_load_b32 v34, v[14:15], off
	v_add_nc_u32_e32 v35, v19, v33
	v_lshl_add_u32 v33, v33, 2, v20
	s_waitcnt vmcnt(0)
	v_mul_f32_e32 v34, v16, v34
	ds_store_b8 v35, v32
	ds_store_b32 v33, v34
	s_or_b32 exec_lo, exec_lo, s0
	s_mov_b32 s0, -1
	s_and_saveexec_b32 s20, vcc_lo
	s_cbranch_execz .LBB3_15
.LBB3_21:                               ;   in Loop: Header=BB3_16 Depth=2
	v_add_co_u32 v5, vcc_lo, v5, 64
	v_add_co_ci_u32_e32 v6, vcc_lo, 0, v6, vcc_lo
	v_add_co_u32 v12, vcc_lo, 0x100, v12
	v_add_co_ci_u32_e32 v13, vcc_lo, 0, v13, vcc_lo
	s_delay_alu instid0(VALU_DEP_3) | instskip(SKIP_1) | instid1(VALU_DEP_1)
	v_cmp_ge_i64_e32 vcc_lo, v[5:6], v[1:2]
	v_add_co_u32 v14, s0, 0x100, v14
	v_add_co_ci_u32_e64 v15, s0, 0, v15, s0
	s_or_not1_b32 s0, vcc_lo, exec_lo
	s_branch .LBB3_15
.LBB3_22:                               ;   in Loop: Header=BB3_13 Depth=1
	s_or_b32 exec_lo, exec_lo, s19
.LBB3_23:                               ;   in Loop: Header=BB3_13 Depth=1
	s_delay_alu instid0(SALU_CYCLE_1) | instskip(NEXT) | instid1(SALU_CYCLE_1)
	s_or_b32 exec_lo, exec_lo, s18
	s_mov_b32 s18, exec_lo
	s_waitcnt lgkmcnt(0)
	buffer_gl0_inv
	v_cmpx_lt_i64_e64 v[7:8], v[3:4]
	s_cbranch_execz .LBB3_33
; %bb.24:                               ;   in Loop: Header=BB3_13 Depth=1
	v_lshlrev_b64 v[14:15], 2, v[7:8]
	s_mov_b32 s19, 0
	s_delay_alu instid0(VALU_DEP_1) | instskip(NEXT) | instid1(VALU_DEP_2)
	v_add_co_u32 v12, vcc_lo, s8, v14
	v_add_co_ci_u32_e32 v13, vcc_lo, s9, v15, vcc_lo
	v_add_co_u32 v14, vcc_lo, s2, v14
	v_add_co_ci_u32_e32 v15, vcc_lo, s3, v15, vcc_lo
	s_branch .LBB3_26
.LBB3_25:                               ;   in Loop: Header=BB3_26 Depth=2
	s_or_b32 exec_lo, exec_lo, s20
	s_delay_alu instid0(SALU_CYCLE_1) | instskip(NEXT) | instid1(SALU_CYCLE_1)
	s_and_b32 s0, exec_lo, s0
	s_or_b32 s19, s0, s19
	s_delay_alu instid0(SALU_CYCLE_1)
	s_and_not1_b32 exec_lo, exec_lo, s19
	s_cbranch_execz .LBB3_32
.LBB3_26:                               ;   Parent Loop BB3_13 Depth=1
                                        ; =>  This Inner Loop Header: Depth=2
	global_load_b32 v33, v[12:13], off
	s_waitcnt vmcnt(0)
	v_subrev_nc_u32_e32 v34, s5, v33
	s_delay_alu instid0(VALU_DEP_1) | instskip(NEXT) | instid1(VALU_DEP_1)
	v_sub_nc_u32_e32 v33, v34, v9
	v_cmp_gt_u32_e32 vcc_lo, 64, v33
	v_cmp_lt_u32_e64 s0, 63, v33
	s_delay_alu instid0(VALU_DEP_1) | instskip(NEXT) | instid1(SALU_CYCLE_1)
	s_and_saveexec_b32 s20, s0
	s_xor_b32 s0, exec_lo, s20
	s_cbranch_execnz .LBB3_29
; %bb.27:                               ;   in Loop: Header=BB3_26 Depth=2
	s_and_not1_saveexec_b32 s0, s0
	s_cbranch_execnz .LBB3_30
.LBB3_28:                               ;   in Loop: Header=BB3_26 Depth=2
	s_or_b32 exec_lo, exec_lo, s0
	s_mov_b32 s0, -1
	s_and_saveexec_b32 s20, vcc_lo
	s_cbranch_execz .LBB3_25
	s_branch .LBB3_31
.LBB3_29:                               ;   in Loop: Header=BB3_26 Depth=2
	v_min_i32_e32 v10, v34, v10
                                        ; implicit-def: $vgpr33
	s_and_not1_saveexec_b32 s0, s0
	s_cbranch_execz .LBB3_28
.LBB3_30:                               ;   in Loop: Header=BB3_26 Depth=2
	global_load_b32 v34, v[14:15], off
	v_lshl_add_u32 v35, v33, 2, v20
	ds_load_b32 v36, v35
	s_waitcnt vmcnt(0) lgkmcnt(0)
	v_dual_fmac_f32 v36, v17, v34 :: v_dual_add_nc_u32 v33, v19, v33
	ds_store_b8 v33, v32
	ds_store_b32 v35, v36
	s_or_b32 exec_lo, exec_lo, s0
	s_mov_b32 s0, -1
	s_and_saveexec_b32 s20, vcc_lo
	s_cbranch_execz .LBB3_25
.LBB3_31:                               ;   in Loop: Header=BB3_26 Depth=2
	v_add_co_u32 v7, vcc_lo, v7, 64
	v_add_co_ci_u32_e32 v8, vcc_lo, 0, v8, vcc_lo
	v_add_co_u32 v12, vcc_lo, 0x100, v12
	v_add_co_ci_u32_e32 v13, vcc_lo, 0, v13, vcc_lo
	s_delay_alu instid0(VALU_DEP_3) | instskip(SKIP_1) | instid1(VALU_DEP_1)
	v_cmp_ge_i64_e32 vcc_lo, v[7:8], v[3:4]
	v_add_co_u32 v14, s0, 0x100, v14
	v_add_co_ci_u32_e64 v15, s0, 0, v15, s0
	s_or_not1_b32 s0, vcc_lo, exec_lo
	s_branch .LBB3_25
.LBB3_32:                               ;   in Loop: Header=BB3_13 Depth=1
	s_or_b32 exec_lo, exec_lo, s19
.LBB3_33:                               ;   in Loop: Header=BB3_13 Depth=1
	s_delay_alu instid0(SALU_CYCLE_1)
	s_or_b32 exec_lo, exec_lo, s18
	s_waitcnt lgkmcnt(0)
	buffer_gl0_inv
	ds_load_u8 v12, v31
	s_mov_b32 s18, exec_lo
	s_waitcnt lgkmcnt(0)
	v_and_b32_e32 v13, 1, v12
	v_cmp_ne_u16_e32 vcc_lo, 0, v12
	s_delay_alu instid0(VALU_DEP_2)
	v_cmpx_eq_u32_e32 1, v13
	s_cbranch_execz .LBB3_12
; %bb.34:                               ;   in Loop: Header=BB3_13 Depth=1
	v_and_b32_e32 v12, vcc_lo, v11
	ds_load_b32 v33, v23
	v_add_nc_u32_e32 v9, v24, v9
	v_bcnt_u32_b32 v12, v12, 0
	s_delay_alu instid0(VALU_DEP_1) | instskip(NEXT) | instid1(VALU_DEP_1)
	v_add_co_u32 v12, s0, v21, v12
	v_add_co_ci_u32_e64 v13, s0, 0, v22, s0
	s_delay_alu instid0(VALU_DEP_1) | instskip(NEXT) | instid1(VALU_DEP_1)
	v_lshlrev_b64 v[12:13], 2, v[12:13]
	v_add_co_u32 v14, s0, s6, v12
	s_delay_alu instid0(VALU_DEP_1) | instskip(SKIP_1) | instid1(VALU_DEP_1)
	v_add_co_ci_u32_e64 v15, s0, s7, v13, s0
	v_add_co_u32 v12, s0, s16, v12
	v_add_co_ci_u32_e64 v13, s0, s17, v13, s0
	global_store_b32 v[14:15], v9, off
	s_waitcnt lgkmcnt(0)
	global_store_b32 v[12:13], v33, off
	s_branch .LBB3_12
.LBB3_35:
	s_nop 0
	s_sendmsg sendmsg(MSG_DEALLOC_VGPRS)
	s_endpgm
	.section	.rodata,"a",@progbits
	.p2align	6, 0x0
	.amdhsa_kernel _ZN9rocsparseL29csrgeam_fill_multipass_kernelILj256ELj64ElifEEvllNS_24const_host_device_scalarIT3_EEPKT1_PKT2_PKS2_S3_S6_S9_SB_S6_PS7_PS2_21rocsparse_index_base_SE_SE_bbb
		.amdhsa_group_segment_fixed_size 1280
		.amdhsa_private_segment_fixed_size 0
		.amdhsa_kernarg_size 120
		.amdhsa_user_sgpr_count 15
		.amdhsa_user_sgpr_dispatch_ptr 0
		.amdhsa_user_sgpr_queue_ptr 0
		.amdhsa_user_sgpr_kernarg_segment_ptr 1
		.amdhsa_user_sgpr_dispatch_id 0
		.amdhsa_user_sgpr_private_segment_size 0
		.amdhsa_wavefront_size32 1
		.amdhsa_uses_dynamic_stack 0
		.amdhsa_enable_private_segment 0
		.amdhsa_system_sgpr_workgroup_id_x 1
		.amdhsa_system_sgpr_workgroup_id_y 0
		.amdhsa_system_sgpr_workgroup_id_z 0
		.amdhsa_system_sgpr_workgroup_info 0
		.amdhsa_system_vgpr_workitem_id 0
		.amdhsa_next_free_vgpr 37
		.amdhsa_next_free_sgpr 21
		.amdhsa_reserve_vcc 1
		.amdhsa_float_round_mode_32 0
		.amdhsa_float_round_mode_16_64 0
		.amdhsa_float_denorm_mode_32 3
		.amdhsa_float_denorm_mode_16_64 3
		.amdhsa_dx10_clamp 1
		.amdhsa_ieee_mode 1
		.amdhsa_fp16_overflow 0
		.amdhsa_workgroup_processor_mode 1
		.amdhsa_memory_ordered 1
		.amdhsa_forward_progress 0
		.amdhsa_shared_vgpr_count 0
		.amdhsa_exception_fp_ieee_invalid_op 0
		.amdhsa_exception_fp_denorm_src 0
		.amdhsa_exception_fp_ieee_div_zero 0
		.amdhsa_exception_fp_ieee_overflow 0
		.amdhsa_exception_fp_ieee_underflow 0
		.amdhsa_exception_fp_ieee_inexact 0
		.amdhsa_exception_int_div_zero 0
	.end_amdhsa_kernel
	.section	.text._ZN9rocsparseL29csrgeam_fill_multipass_kernelILj256ELj64ElifEEvllNS_24const_host_device_scalarIT3_EEPKT1_PKT2_PKS2_S3_S6_S9_SB_S6_PS7_PS2_21rocsparse_index_base_SE_SE_bbb,"axG",@progbits,_ZN9rocsparseL29csrgeam_fill_multipass_kernelILj256ELj64ElifEEvllNS_24const_host_device_scalarIT3_EEPKT1_PKT2_PKS2_S3_S6_S9_SB_S6_PS7_PS2_21rocsparse_index_base_SE_SE_bbb,comdat
.Lfunc_end3:
	.size	_ZN9rocsparseL29csrgeam_fill_multipass_kernelILj256ELj64ElifEEvllNS_24const_host_device_scalarIT3_EEPKT1_PKT2_PKS2_S3_S6_S9_SB_S6_PS7_PS2_21rocsparse_index_base_SE_SE_bbb, .Lfunc_end3-_ZN9rocsparseL29csrgeam_fill_multipass_kernelILj256ELj64ElifEEvllNS_24const_host_device_scalarIT3_EEPKT1_PKT2_PKS2_S3_S6_S9_SB_S6_PS7_PS2_21rocsparse_index_base_SE_SE_bbb
                                        ; -- End function
	.section	.AMDGPU.csdata,"",@progbits
; Kernel info:
; codeLenInByte = 1832
; NumSgprs: 23
; NumVgprs: 37
; ScratchSize: 0
; MemoryBound: 0
; FloatMode: 240
; IeeeMode: 1
; LDSByteSize: 1280 bytes/workgroup (compile time only)
; SGPRBlocks: 2
; VGPRBlocks: 4
; NumSGPRsForWavesPerEU: 23
; NumVGPRsForWavesPerEU: 37
; Occupancy: 16
; WaveLimiterHint : 1
; COMPUTE_PGM_RSRC2:SCRATCH_EN: 0
; COMPUTE_PGM_RSRC2:USER_SGPR: 15
; COMPUTE_PGM_RSRC2:TRAP_HANDLER: 0
; COMPUTE_PGM_RSRC2:TGID_X_EN: 1
; COMPUTE_PGM_RSRC2:TGID_Y_EN: 0
; COMPUTE_PGM_RSRC2:TGID_Z_EN: 0
; COMPUTE_PGM_RSRC2:TIDIG_COMP_CNT: 0
	.section	.text._ZN9rocsparseL29csrgeam_fill_multipass_kernelILj256ELj32EllfEEvllNS_24const_host_device_scalarIT3_EEPKT1_PKT2_PKS2_S3_S6_S9_SB_S6_PS7_PS2_21rocsparse_index_base_SE_SE_bbb,"axG",@progbits,_ZN9rocsparseL29csrgeam_fill_multipass_kernelILj256ELj32EllfEEvllNS_24const_host_device_scalarIT3_EEPKT1_PKT2_PKS2_S3_S6_S9_SB_S6_PS7_PS2_21rocsparse_index_base_SE_SE_bbb,comdat
	.globl	_ZN9rocsparseL29csrgeam_fill_multipass_kernelILj256ELj32EllfEEvllNS_24const_host_device_scalarIT3_EEPKT1_PKT2_PKS2_S3_S6_S9_SB_S6_PS7_PS2_21rocsparse_index_base_SE_SE_bbb ; -- Begin function _ZN9rocsparseL29csrgeam_fill_multipass_kernelILj256ELj32EllfEEvllNS_24const_host_device_scalarIT3_EEPKT1_PKT2_PKS2_S3_S6_S9_SB_S6_PS7_PS2_21rocsparse_index_base_SE_SE_bbb
	.p2align	8
	.type	_ZN9rocsparseL29csrgeam_fill_multipass_kernelILj256ELj32EllfEEvllNS_24const_host_device_scalarIT3_EEPKT1_PKT2_PKS2_S3_S6_S9_SB_S6_PS7_PS2_21rocsparse_index_base_SE_SE_bbb,@function
_ZN9rocsparseL29csrgeam_fill_multipass_kernelILj256ELj32EllfEEvllNS_24const_host_device_scalarIT3_EEPKT1_PKT2_PKS2_S3_S6_S9_SB_S6_PS7_PS2_21rocsparse_index_base_SE_SE_bbb: ; @_ZN9rocsparseL29csrgeam_fill_multipass_kernelILj256ELj32EllfEEvllNS_24const_host_device_scalarIT3_EEPKT1_PKT2_PKS2_S3_S6_S9_SB_S6_PS7_PS2_21rocsparse_index_base_SE_SE_bbb
; %bb.0:
	s_clause 0x4
	s_load_b128 s[4:7], s[0:1], 0x68
	s_load_b32 s14, s[0:1], 0x74
	s_load_b64 s[2:3], s[0:1], 0x30
	s_load_b128 s[8:11], s[0:1], 0x0
	s_load_b64 s[12:13], s[0:1], 0x10
	s_waitcnt lgkmcnt(0)
	s_bitcmp1_b32 s7, 0
	s_cselect_b32 s16, -1, 0
	s_bitcmp1_b32 s14, 16
	s_cselect_b32 s7, -1, 0
	s_xor_b32 s17, s16, -1
	s_delay_alu instid0(SALU_CYCLE_1) | instskip(NEXT) | instid1(SALU_CYCLE_1)
	s_or_b32 s17, s17, s7
	s_and_b32 vcc_lo, exec_lo, s17
	s_cbranch_vccnz .LBB4_2
; %bb.1:
	s_load_b32 s12, s[12:13], 0x0
	s_waitcnt lgkmcnt(0)
	v_mov_b32_e32 v21, s12
	s_branch .LBB4_3
.LBB4_2:
	v_cndmask_b32_e64 v21, 0, s12, s16
.LBB4_3:
	s_bitcmp1_b32 s14, 8
	s_cselect_b32 s12, -1, 0
	s_delay_alu instid0(SALU_CYCLE_1) | instskip(NEXT) | instid1(SALU_CYCLE_1)
	s_xor_b32 s13, s12, -1
	s_or_b32 s7, s13, s7
	s_delay_alu instid0(SALU_CYCLE_1)
	s_and_b32 vcc_lo, exec_lo, s7
	s_cbranch_vccnz .LBB4_5
; %bb.4:
	s_load_b32 s2, s[2:3], 0x0
	s_waitcnt lgkmcnt(0)
	v_mov_b32_e32 v22, s2
	s_branch .LBB4_6
.LBB4_5:
	v_cndmask_b32_e64 v22, 0, s2, s12
.LBB4_6:
	v_lshrrev_b32_e32 v1, 5, v0
	s_lshl_b32 s2, s15, 3
	v_mov_b32_e32 v2, 0
	s_delay_alu instid0(VALU_DEP_2) | instskip(SKIP_1) | instid1(VALU_DEP_1)
	v_and_or_b32 v1, 0x7fffff8, s2, v1
	s_mov_b32 s2, exec_lo
	v_cmpx_gt_i64_e64 s[8:9], v[1:2]
	s_cbranch_execz .LBB4_35
; %bb.7:
	s_clause 0x2
	s_load_b128 s[12:15], s[0:1], 0x18
	s_load_b128 s[16:19], s[0:1], 0x38
	;; [unrolled: 1-line block ×3, first 2 shown]
	v_dual_mov_b32 v14, s11 :: v_dual_lshlrev_b32 v9, 3, v1
	v_mov_b32_e32 v13, s10
	s_mov_b32 s2, exec_lo
	s_waitcnt lgkmcnt(0)
	s_clause 0x2
	global_load_b128 v[1:4], v9, s[12:13]
	global_load_b128 v[5:8], v9, s[16:17]
	global_load_b64 v[9:10], v9, s[20:21]
	s_load_b64 s[12:13], s[0:1], 0x60
	s_waitcnt vmcnt(2)
	v_sub_co_u32 v11, vcc_lo, v1, s4
	v_subrev_co_ci_u32_e32 v12, vcc_lo, 0, v2, vcc_lo
	v_cmpx_lt_i64_e64 v[1:2], v[3:4]
	s_cbranch_execz .LBB4_9
; %bb.8:
	s_delay_alu instid0(VALU_DEP_2) | instskip(NEXT) | instid1(VALU_DEP_1)
	v_lshlrev_b64 v[1:2], 3, v[11:12]
	v_add_co_u32 v1, vcc_lo, s14, v1
	s_delay_alu instid0(VALU_DEP_2)
	v_add_co_ci_u32_e32 v2, vcc_lo, s15, v2, vcc_lo
	global_load_b64 v[1:2], v[1:2], off
	s_waitcnt vmcnt(0)
	v_sub_co_u32 v13, vcc_lo, v1, s4
	v_subrev_co_ci_u32_e32 v14, vcc_lo, 0, v2, vcc_lo
.LBB4_9:
	s_or_b32 exec_lo, exec_lo, s2
	s_clause 0x1
	s_load_b64 s[2:3], s[0:1], 0x48
	s_load_b64 s[8:9], s[0:1], 0x28
	s_waitcnt vmcnt(1)
	v_sub_co_u32 v15, vcc_lo, v5, s5
	v_subrev_co_ci_u32_e32 v16, vcc_lo, 0, v6, vcc_lo
	v_cmp_lt_i64_e32 vcc_lo, v[5:6], v[7:8]
	v_dual_mov_b32 v5, s10 :: v_dual_mov_b32 v6, s11
	s_mov_b32 s1, s5
	s_and_saveexec_b32 s0, vcc_lo
	s_cbranch_execz .LBB4_11
; %bb.10:
	v_lshlrev_b64 v[1:2], 3, v[15:16]
	s_delay_alu instid0(VALU_DEP_1) | instskip(NEXT) | instid1(VALU_DEP_2)
	v_add_co_u32 v1, vcc_lo, s18, v1
	v_add_co_ci_u32_e32 v2, vcc_lo, s19, v2, vcc_lo
	global_load_b64 v[1:2], v[1:2], off
	s_waitcnt vmcnt(0)
	v_sub_co_u32 v5, vcc_lo, v1, s1
	v_subrev_co_ci_u32_e32 v6, vcc_lo, 0, v2, vcc_lo
.LBB4_11:
	s_or_b32 exec_lo, exec_lo, s0
	v_and_b32_e32 v1, 0xe0, v0
	v_dual_mov_b32 v0, 0 :: v_dual_and_b32 v17, 31, v0
	s_waitcnt vmcnt(0)
	v_sub_co_u32 v25, s0, v9, s6
	s_delay_alu instid0(VALU_DEP_3)
	v_or_b32_e32 v23, 0x400, v1
	v_lshlrev_b32_e32 v24, 2, v1
	v_sub_co_u32 v1, vcc_lo, v3, s4
	v_subrev_co_ci_u32_e32 v2, vcc_lo, 0, v4, vcc_lo
	v_sub_co_u32 v3, vcc_lo, v7, s1
	v_subrev_co_ci_u32_e32 v4, vcc_lo, 0, v8, vcc_lo
	v_cmp_lt_i64_e32 vcc_lo, v[5:6], v[13:14]
	v_subrev_co_ci_u32_e64 v26, s0, 0, v10, s0
	v_add_co_u32 v29, s0, s6, v17
	s_delay_alu instid0(VALU_DEP_1)
	v_add_co_ci_u32_e64 v30, null, 0, 0, s0
	v_dual_cndmask_b32 v10, v14, v6 :: v_dual_cndmask_b32 v9, v13, v5
	v_add_co_u32 v5, vcc_lo, v11, v17
	v_add_co_ci_u32_e32 v6, vcc_lo, 0, v12, vcc_lo
	v_mbcnt_lo_u32_b32 v11, -1, 0
	v_xor_b32_e32 v12, 31, v17
	v_add_co_u32 v7, vcc_lo, v15, v17
	v_add_co_ci_u32_e32 v8, vcc_lo, 0, v16, vcc_lo
	s_delay_alu instid0(VALU_DEP_3)
	v_lshrrev_b32_e64 v28, v12, -1
	v_xor_b32_e32 v12, 16, v11
	v_xor_b32_e32 v13, 8, v11
	;; [unrolled: 1-line block ×5, first 2 shown]
	v_cmp_gt_i32_e32 vcc_lo, 32, v12
	s_add_u32 s6, s22, -8
	v_dual_mov_b32 v37, 1 :: v_dual_add_nc_u32 v36, v23, v17
	s_addc_u32 s7, s23, -1
	v_cndmask_b32_e32 v12, v11, v12, vcc_lo
	v_cmp_gt_i32_e32 vcc_lo, 32, v13
	s_waitcnt lgkmcnt(0)
	s_add_u32 s12, s12, -4
	s_mov_b32 s5, 0
	s_addc_u32 s13, s13, -1
	v_lshlrev_b32_e32 v31, 2, v12
	v_cndmask_b32_e32 v13, v11, v13, vcc_lo
	v_cmp_gt_i32_e32 vcc_lo, 32, v14
	v_cndmask_b32_e32 v14, v11, v14, vcc_lo
	v_cmp_gt_i32_e32 vcc_lo, 32, v15
	s_delay_alu instid0(VALU_DEP_2) | instskip(SKIP_3) | instid1(VALU_DEP_3)
	v_lshlrev_b32_e32 v33, 2, v14
	v_cndmask_b32_e32 v15, v11, v15, vcc_lo
	v_cmp_gt_i32_e32 vcc_lo, 32, v16
	v_lshl_or_b32 v27, v17, 2, v24
	v_dual_cndmask_b32 v11, v11, v16 :: v_dual_lshlrev_b32 v34, 2, v15
	v_lshlrev_b32_e32 v32, 2, v13
	s_delay_alu instid0(VALU_DEP_2)
	v_lshlrev_b32_e32 v35, 2, v11
	s_branch .LBB4_13
.LBB4_12:                               ;   in Loop: Header=BB4_13 Depth=1
	s_or_b32 exec_lo, exec_lo, s16
	ds_bpermute_b32 v9, v31, v11
	ds_bpermute_b32 v10, v31, v12
	s_waitcnt lgkmcnt(0)
	v_cmp_lt_i64_e64 s0, v[9:10], v[11:12]
	s_delay_alu instid0(VALU_DEP_1)
	v_cndmask_b32_e64 v10, v12, v10, s0
	v_cndmask_b32_e64 v9, v11, v9, s0
	ds_bpermute_b32 v12, v32, v10
	ds_bpermute_b32 v11, v32, v9
	s_waitcnt lgkmcnt(0)
	v_cmp_lt_i64_e64 s0, v[11:12], v[9:10]
	s_delay_alu instid0(VALU_DEP_1)
	v_cndmask_b32_e64 v10, v10, v12, s0
	v_cndmask_b32_e64 v9, v9, v11, s0
	;; [unrolled: 7-line block ×4, first 2 shown]
	ds_bpermute_b32 v12, v35, v10
	ds_bpermute_b32 v11, v35, v9
	s_waitcnt lgkmcnt(0)
	v_cmp_lt_i64_e64 s0, v[11:12], v[9:10]
	s_delay_alu instid0(VALU_DEP_1) | instskip(SKIP_2) | instid1(SALU_CYCLE_1)
	v_cndmask_b32_e64 v10, v10, v12, s0
	v_cndmask_b32_e64 v9, v9, v11, s0
	s_bcnt1_i32_b32 s0, vcc_lo
	v_add_co_u32 v25, s0, v25, s0
	s_delay_alu instid0(VALU_DEP_2) | instskip(SKIP_2) | instid1(SALU_CYCLE_1)
	v_cmp_le_i64_e32 vcc_lo, s[10:11], v[9:10]
	v_add_co_ci_u32_e64 v26, s0, 0, v26, s0
	s_or_b32 s5, vcc_lo, s5
	s_and_not1_b32 exec_lo, exec_lo, s5
	s_cbranch_execz .LBB4_35
.LBB4_13:                               ; =>This Loop Header: Depth=1
                                        ;     Child Loop BB4_16 Depth 2
                                        ;     Child Loop BB4_26 Depth 2
	v_dual_mov_b32 v12, s11 :: v_dual_mov_b32 v11, s10
	s_mov_b32 s16, exec_lo
	ds_store_b8 v36, v0
	ds_store_b32 v27, v0
	s_waitcnt lgkmcnt(0)
	buffer_gl0_inv
	v_cmpx_lt_i64_e64 v[5:6], v[1:2]
	s_cbranch_execz .LBB4_23
; %bb.14:                               ;   in Loop: Header=BB4_13 Depth=1
	v_lshlrev_b64 v[11:12], 3, v[5:6]
	v_lshlrev_b64 v[15:16], 2, v[5:6]
	s_mov_b32 s17, 0
	s_delay_alu instid0(VALU_DEP_2) | instskip(NEXT) | instid1(VALU_DEP_3)
	v_add_co_u32 v13, vcc_lo, s14, v11
	v_add_co_ci_u32_e32 v14, vcc_lo, s15, v12, vcc_lo
	s_delay_alu instid0(VALU_DEP_3) | instskip(NEXT) | instid1(VALU_DEP_4)
	v_add_co_u32 v15, vcc_lo, s8, v15
	v_add_co_ci_u32_e32 v16, vcc_lo, s9, v16, vcc_lo
	v_dual_mov_b32 v12, s11 :: v_dual_mov_b32 v11, s10
	s_branch .LBB4_16
.LBB4_15:                               ;   in Loop: Header=BB4_16 Depth=2
	s_or_b32 exec_lo, exec_lo, s20
	s_delay_alu instid0(SALU_CYCLE_1) | instskip(NEXT) | instid1(SALU_CYCLE_1)
	s_and_b32 s0, exec_lo, s0
	s_or_b32 s17, s0, s17
	s_delay_alu instid0(SALU_CYCLE_1)
	s_and_not1_b32 exec_lo, exec_lo, s17
	s_cbranch_execz .LBB4_22
.LBB4_16:                               ;   Parent Loop BB4_13 Depth=1
                                        ; =>  This Inner Loop Header: Depth=2
	global_load_b64 v[17:18], v[13:14], off
	s_mov_b32 s20, exec_lo
	s_waitcnt vmcnt(0)
	v_sub_co_u32 v19, vcc_lo, v17, s4
	v_subrev_co_ci_u32_e32 v20, vcc_lo, 0, v18, vcc_lo
	s_delay_alu instid0(VALU_DEP_2) | instskip(NEXT) | instid1(VALU_DEP_2)
	v_sub_co_u32 v17, vcc_lo, v19, v9
	v_sub_co_ci_u32_e32 v18, vcc_lo, v20, v10, vcc_lo
	s_delay_alu instid0(VALU_DEP_1)
	v_cmp_gt_i64_e32 vcc_lo, 32, v[17:18]
	v_cmpx_lt_i64_e32 31, v[17:18]
	s_xor_b32 s20, exec_lo, s20
	s_cbranch_execnz .LBB4_19
; %bb.17:                               ;   in Loop: Header=BB4_16 Depth=2
	s_and_not1_saveexec_b32 s0, s20
	s_cbranch_execnz .LBB4_20
.LBB4_18:                               ;   in Loop: Header=BB4_16 Depth=2
	s_or_b32 exec_lo, exec_lo, s0
	s_mov_b32 s0, -1
	s_and_saveexec_b32 s20, vcc_lo
	s_cbranch_execz .LBB4_15
	s_branch .LBB4_21
.LBB4_19:                               ;   in Loop: Header=BB4_16 Depth=2
	v_cmp_lt_i64_e64 s0, v[19:20], v[11:12]
                                        ; implicit-def: $vgpr17
	s_delay_alu instid0(VALU_DEP_1)
	v_cndmask_b32_e64 v12, v12, v20, s0
	v_cndmask_b32_e64 v11, v11, v19, s0
	s_and_not1_saveexec_b32 s0, s20
	s_cbranch_execz .LBB4_18
.LBB4_20:                               ;   in Loop: Header=BB4_16 Depth=2
	global_load_b32 v18, v[15:16], off
	v_add_nc_u32_e32 v19, v23, v17
	v_lshl_add_u32 v17, v17, 2, v24
	s_waitcnt vmcnt(0)
	v_mul_f32_e32 v18, v21, v18
	ds_store_b8 v19, v37
	ds_store_b32 v17, v18
	s_or_b32 exec_lo, exec_lo, s0
	s_mov_b32 s0, -1
	s_and_saveexec_b32 s20, vcc_lo
	s_cbranch_execz .LBB4_15
.LBB4_21:                               ;   in Loop: Header=BB4_16 Depth=2
	v_add_co_u32 v5, vcc_lo, v5, 32
	v_add_co_ci_u32_e32 v6, vcc_lo, 0, v6, vcc_lo
	v_add_co_u32 v13, vcc_lo, 0x100, v13
	v_add_co_ci_u32_e32 v14, vcc_lo, 0, v14, vcc_lo
	s_delay_alu instid0(VALU_DEP_3) | instskip(SKIP_1) | instid1(VALU_DEP_1)
	v_cmp_ge_i64_e32 vcc_lo, v[5:6], v[1:2]
	v_add_co_u32 v15, s0, 0x80, v15
	v_add_co_ci_u32_e64 v16, s0, 0, v16, s0
	s_or_not1_b32 s0, vcc_lo, exec_lo
	s_branch .LBB4_15
.LBB4_22:                               ;   in Loop: Header=BB4_13 Depth=1
	s_or_b32 exec_lo, exec_lo, s17
.LBB4_23:                               ;   in Loop: Header=BB4_13 Depth=1
	s_delay_alu instid0(SALU_CYCLE_1) | instskip(NEXT) | instid1(SALU_CYCLE_1)
	s_or_b32 exec_lo, exec_lo, s16
	s_mov_b32 s16, exec_lo
	s_waitcnt lgkmcnt(0)
	buffer_gl0_inv
	v_cmpx_lt_i64_e64 v[7:8], v[3:4]
	s_cbranch_execz .LBB4_33
; %bb.24:                               ;   in Loop: Header=BB4_13 Depth=1
	v_lshlrev_b64 v[13:14], 3, v[7:8]
	v_lshlrev_b64 v[15:16], 2, v[7:8]
	s_mov_b32 s17, 0
	s_delay_alu instid0(VALU_DEP_2) | instskip(NEXT) | instid1(VALU_DEP_3)
	v_add_co_u32 v13, vcc_lo, s18, v13
	v_add_co_ci_u32_e32 v14, vcc_lo, s19, v14, vcc_lo
	s_delay_alu instid0(VALU_DEP_3) | instskip(NEXT) | instid1(VALU_DEP_4)
	v_add_co_u32 v15, vcc_lo, s2, v15
	v_add_co_ci_u32_e32 v16, vcc_lo, s3, v16, vcc_lo
	s_branch .LBB4_26
.LBB4_25:                               ;   in Loop: Header=BB4_26 Depth=2
	s_or_b32 exec_lo, exec_lo, s20
	s_delay_alu instid0(SALU_CYCLE_1) | instskip(NEXT) | instid1(SALU_CYCLE_1)
	s_and_b32 s0, exec_lo, s0
	s_or_b32 s17, s0, s17
	s_delay_alu instid0(SALU_CYCLE_1)
	s_and_not1_b32 exec_lo, exec_lo, s17
	s_cbranch_execz .LBB4_32
.LBB4_26:                               ;   Parent Loop BB4_13 Depth=1
                                        ; =>  This Inner Loop Header: Depth=2
	global_load_b64 v[17:18], v[13:14], off
	s_mov_b32 s20, exec_lo
	s_waitcnt vmcnt(0)
	v_sub_co_u32 v19, vcc_lo, v17, s1
	v_subrev_co_ci_u32_e32 v20, vcc_lo, 0, v18, vcc_lo
	s_delay_alu instid0(VALU_DEP_2) | instskip(NEXT) | instid1(VALU_DEP_2)
	v_sub_co_u32 v17, vcc_lo, v19, v9
	v_sub_co_ci_u32_e32 v18, vcc_lo, v20, v10, vcc_lo
	s_delay_alu instid0(VALU_DEP_1)
	v_cmp_gt_i64_e32 vcc_lo, 32, v[17:18]
	v_cmpx_lt_i64_e32 31, v[17:18]
	s_xor_b32 s20, exec_lo, s20
	s_cbranch_execnz .LBB4_29
; %bb.27:                               ;   in Loop: Header=BB4_26 Depth=2
	s_and_not1_saveexec_b32 s0, s20
	s_cbranch_execnz .LBB4_30
.LBB4_28:                               ;   in Loop: Header=BB4_26 Depth=2
	s_or_b32 exec_lo, exec_lo, s0
	s_mov_b32 s0, -1
	s_and_saveexec_b32 s20, vcc_lo
	s_cbranch_execz .LBB4_25
	s_branch .LBB4_31
.LBB4_29:                               ;   in Loop: Header=BB4_26 Depth=2
	v_cmp_lt_i64_e64 s0, v[19:20], v[11:12]
                                        ; implicit-def: $vgpr17
	s_delay_alu instid0(VALU_DEP_1)
	v_cndmask_b32_e64 v12, v12, v20, s0
	v_cndmask_b32_e64 v11, v11, v19, s0
	s_and_not1_saveexec_b32 s0, s20
	s_cbranch_execz .LBB4_28
.LBB4_30:                               ;   in Loop: Header=BB4_26 Depth=2
	global_load_b32 v18, v[15:16], off
	v_lshl_add_u32 v19, v17, 2, v24
	ds_load_b32 v20, v19
	s_waitcnt vmcnt(0) lgkmcnt(0)
	v_dual_fmac_f32 v20, v22, v18 :: v_dual_add_nc_u32 v17, v23, v17
	ds_store_b8 v17, v37
	ds_store_b32 v19, v20
	s_or_b32 exec_lo, exec_lo, s0
	s_mov_b32 s0, -1
	s_and_saveexec_b32 s20, vcc_lo
	s_cbranch_execz .LBB4_25
.LBB4_31:                               ;   in Loop: Header=BB4_26 Depth=2
	v_add_co_u32 v7, vcc_lo, v7, 32
	v_add_co_ci_u32_e32 v8, vcc_lo, 0, v8, vcc_lo
	v_add_co_u32 v13, vcc_lo, 0x100, v13
	v_add_co_ci_u32_e32 v14, vcc_lo, 0, v14, vcc_lo
	s_delay_alu instid0(VALU_DEP_3) | instskip(SKIP_1) | instid1(VALU_DEP_1)
	v_cmp_ge_i64_e32 vcc_lo, v[7:8], v[3:4]
	v_add_co_u32 v15, s0, 0x80, v15
	v_add_co_ci_u32_e64 v16, s0, 0, v16, s0
	s_or_not1_b32 s0, vcc_lo, exec_lo
	s_branch .LBB4_25
.LBB4_32:                               ;   in Loop: Header=BB4_13 Depth=1
	s_or_b32 exec_lo, exec_lo, s17
.LBB4_33:                               ;   in Loop: Header=BB4_13 Depth=1
	s_delay_alu instid0(SALU_CYCLE_1)
	s_or_b32 exec_lo, exec_lo, s16
	s_waitcnt lgkmcnt(0)
	buffer_gl0_inv
	ds_load_u8 v13, v36
	s_mov_b32 s16, exec_lo
	s_waitcnt lgkmcnt(0)
	v_and_b32_e32 v14, 1, v13
	v_cmp_ne_u16_e32 vcc_lo, 0, v13
	s_delay_alu instid0(VALU_DEP_2)
	v_cmpx_eq_u32_e32 1, v14
	s_cbranch_execz .LBB4_12
; %bb.34:                               ;   in Loop: Header=BB4_13 Depth=1
	v_and_b32_e32 v13, vcc_lo, v28
	ds_load_b32 v17, v27
	v_bcnt_u32_b32 v13, v13, 0
	s_delay_alu instid0(VALU_DEP_1) | instskip(NEXT) | instid1(VALU_DEP_1)
	v_add_co_u32 v13, s0, v25, v13
	v_add_co_ci_u32_e64 v14, s0, 0, v26, s0
	v_add_co_u32 v9, s0, v29, v9
	s_delay_alu instid0(VALU_DEP_1) | instskip(NEXT) | instid1(VALU_DEP_3)
	v_add_co_ci_u32_e64 v10, s0, v30, v10, s0
	v_lshlrev_b64 v[15:16], 3, v[13:14]
	v_lshlrev_b64 v[13:14], 2, v[13:14]
	s_delay_alu instid0(VALU_DEP_2) | instskip(NEXT) | instid1(VALU_DEP_1)
	v_add_co_u32 v15, s0, s6, v15
	v_add_co_ci_u32_e64 v16, s0, s7, v16, s0
	s_delay_alu instid0(VALU_DEP_3) | instskip(NEXT) | instid1(VALU_DEP_1)
	v_add_co_u32 v13, s0, s12, v13
	v_add_co_ci_u32_e64 v14, s0, s13, v14, s0
	global_store_b64 v[15:16], v[9:10], off
	s_waitcnt lgkmcnt(0)
	global_store_b32 v[13:14], v17, off
	s_branch .LBB4_12
.LBB4_35:
	s_nop 0
	s_sendmsg sendmsg(MSG_DEALLOC_VGPRS)
	s_endpgm
	.section	.rodata,"a",@progbits
	.p2align	6, 0x0
	.amdhsa_kernel _ZN9rocsparseL29csrgeam_fill_multipass_kernelILj256ELj32EllfEEvllNS_24const_host_device_scalarIT3_EEPKT1_PKT2_PKS2_S3_S6_S9_SB_S6_PS7_PS2_21rocsparse_index_base_SE_SE_bbb
		.amdhsa_group_segment_fixed_size 1280
		.amdhsa_private_segment_fixed_size 0
		.amdhsa_kernarg_size 120
		.amdhsa_user_sgpr_count 15
		.amdhsa_user_sgpr_dispatch_ptr 0
		.amdhsa_user_sgpr_queue_ptr 0
		.amdhsa_user_sgpr_kernarg_segment_ptr 1
		.amdhsa_user_sgpr_dispatch_id 0
		.amdhsa_user_sgpr_private_segment_size 0
		.amdhsa_wavefront_size32 1
		.amdhsa_uses_dynamic_stack 0
		.amdhsa_enable_private_segment 0
		.amdhsa_system_sgpr_workgroup_id_x 1
		.amdhsa_system_sgpr_workgroup_id_y 0
		.amdhsa_system_sgpr_workgroup_id_z 0
		.amdhsa_system_sgpr_workgroup_info 0
		.amdhsa_system_vgpr_workitem_id 0
		.amdhsa_next_free_vgpr 38
		.amdhsa_next_free_sgpr 24
		.amdhsa_reserve_vcc 1
		.amdhsa_float_round_mode_32 0
		.amdhsa_float_round_mode_16_64 0
		.amdhsa_float_denorm_mode_32 3
		.amdhsa_float_denorm_mode_16_64 3
		.amdhsa_dx10_clamp 1
		.amdhsa_ieee_mode 1
		.amdhsa_fp16_overflow 0
		.amdhsa_workgroup_processor_mode 1
		.amdhsa_memory_ordered 1
		.amdhsa_forward_progress 0
		.amdhsa_shared_vgpr_count 0
		.amdhsa_exception_fp_ieee_invalid_op 0
		.amdhsa_exception_fp_denorm_src 0
		.amdhsa_exception_fp_ieee_div_zero 0
		.amdhsa_exception_fp_ieee_overflow 0
		.amdhsa_exception_fp_ieee_underflow 0
		.amdhsa_exception_fp_ieee_inexact 0
		.amdhsa_exception_int_div_zero 0
	.end_amdhsa_kernel
	.section	.text._ZN9rocsparseL29csrgeam_fill_multipass_kernelILj256ELj32EllfEEvllNS_24const_host_device_scalarIT3_EEPKT1_PKT2_PKS2_S3_S6_S9_SB_S6_PS7_PS2_21rocsparse_index_base_SE_SE_bbb,"axG",@progbits,_ZN9rocsparseL29csrgeam_fill_multipass_kernelILj256ELj32EllfEEvllNS_24const_host_device_scalarIT3_EEPKT1_PKT2_PKS2_S3_S6_S9_SB_S6_PS7_PS2_21rocsparse_index_base_SE_SE_bbb,comdat
.Lfunc_end4:
	.size	_ZN9rocsparseL29csrgeam_fill_multipass_kernelILj256ELj32EllfEEvllNS_24const_host_device_scalarIT3_EEPKT1_PKT2_PKS2_S3_S6_S9_SB_S6_PS7_PS2_21rocsparse_index_base_SE_SE_bbb, .Lfunc_end4-_ZN9rocsparseL29csrgeam_fill_multipass_kernelILj256ELj32EllfEEvllNS_24const_host_device_scalarIT3_EEPKT1_PKT2_PKS2_S3_S6_S9_SB_S6_PS7_PS2_21rocsparse_index_base_SE_SE_bbb
                                        ; -- End function
	.section	.AMDGPU.csdata,"",@progbits
; Kernel info:
; codeLenInByte = 2060
; NumSgprs: 26
; NumVgprs: 38
; ScratchSize: 0
; MemoryBound: 0
; FloatMode: 240
; IeeeMode: 1
; LDSByteSize: 1280 bytes/workgroup (compile time only)
; SGPRBlocks: 3
; VGPRBlocks: 4
; NumSGPRsForWavesPerEU: 26
; NumVGPRsForWavesPerEU: 38
; Occupancy: 16
; WaveLimiterHint : 1
; COMPUTE_PGM_RSRC2:SCRATCH_EN: 0
; COMPUTE_PGM_RSRC2:USER_SGPR: 15
; COMPUTE_PGM_RSRC2:TRAP_HANDLER: 0
; COMPUTE_PGM_RSRC2:TGID_X_EN: 1
; COMPUTE_PGM_RSRC2:TGID_Y_EN: 0
; COMPUTE_PGM_RSRC2:TGID_Z_EN: 0
; COMPUTE_PGM_RSRC2:TIDIG_COMP_CNT: 0
	.section	.text._ZN9rocsparseL29csrgeam_fill_multipass_kernelILj256ELj64EllfEEvllNS_24const_host_device_scalarIT3_EEPKT1_PKT2_PKS2_S3_S6_S9_SB_S6_PS7_PS2_21rocsparse_index_base_SE_SE_bbb,"axG",@progbits,_ZN9rocsparseL29csrgeam_fill_multipass_kernelILj256ELj64EllfEEvllNS_24const_host_device_scalarIT3_EEPKT1_PKT2_PKS2_S3_S6_S9_SB_S6_PS7_PS2_21rocsparse_index_base_SE_SE_bbb,comdat
	.globl	_ZN9rocsparseL29csrgeam_fill_multipass_kernelILj256ELj64EllfEEvllNS_24const_host_device_scalarIT3_EEPKT1_PKT2_PKS2_S3_S6_S9_SB_S6_PS7_PS2_21rocsparse_index_base_SE_SE_bbb ; -- Begin function _ZN9rocsparseL29csrgeam_fill_multipass_kernelILj256ELj64EllfEEvllNS_24const_host_device_scalarIT3_EEPKT1_PKT2_PKS2_S3_S6_S9_SB_S6_PS7_PS2_21rocsparse_index_base_SE_SE_bbb
	.p2align	8
	.type	_ZN9rocsparseL29csrgeam_fill_multipass_kernelILj256ELj64EllfEEvllNS_24const_host_device_scalarIT3_EEPKT1_PKT2_PKS2_S3_S6_S9_SB_S6_PS7_PS2_21rocsparse_index_base_SE_SE_bbb,@function
_ZN9rocsparseL29csrgeam_fill_multipass_kernelILj256ELj64EllfEEvllNS_24const_host_device_scalarIT3_EEPKT1_PKT2_PKS2_S3_S6_S9_SB_S6_PS7_PS2_21rocsparse_index_base_SE_SE_bbb: ; @_ZN9rocsparseL29csrgeam_fill_multipass_kernelILj256ELj64EllfEEvllNS_24const_host_device_scalarIT3_EEPKT1_PKT2_PKS2_S3_S6_S9_SB_S6_PS7_PS2_21rocsparse_index_base_SE_SE_bbb
; %bb.0:
	s_clause 0x4
	s_load_b128 s[4:7], s[0:1], 0x68
	s_load_b32 s14, s[0:1], 0x74
	s_load_b64 s[2:3], s[0:1], 0x30
	s_load_b128 s[8:11], s[0:1], 0x0
	s_load_b64 s[12:13], s[0:1], 0x10
	s_waitcnt lgkmcnt(0)
	s_bitcmp1_b32 s7, 0
	s_cselect_b32 s16, -1, 0
	s_bitcmp1_b32 s14, 16
	s_cselect_b32 s7, -1, 0
	s_xor_b32 s17, s16, -1
	s_delay_alu instid0(SALU_CYCLE_1) | instskip(NEXT) | instid1(SALU_CYCLE_1)
	s_or_b32 s17, s17, s7
	s_and_b32 vcc_lo, exec_lo, s17
	s_cbranch_vccnz .LBB5_2
; %bb.1:
	s_load_b32 s12, s[12:13], 0x0
	s_waitcnt lgkmcnt(0)
	v_mov_b32_e32 v23, s12
	s_branch .LBB5_3
.LBB5_2:
	v_cndmask_b32_e64 v23, 0, s12, s16
.LBB5_3:
	s_bitcmp1_b32 s14, 8
	s_cselect_b32 s12, -1, 0
	s_delay_alu instid0(SALU_CYCLE_1) | instskip(NEXT) | instid1(SALU_CYCLE_1)
	s_xor_b32 s13, s12, -1
	s_or_b32 s7, s13, s7
	s_delay_alu instid0(SALU_CYCLE_1)
	s_and_b32 vcc_lo, exec_lo, s7
	s_cbranch_vccnz .LBB5_5
; %bb.4:
	s_load_b32 s2, s[2:3], 0x0
	s_waitcnt lgkmcnt(0)
	v_mov_b32_e32 v24, s2
	s_branch .LBB5_6
.LBB5_5:
	v_cndmask_b32_e64 v24, 0, s2, s12
.LBB5_6:
	v_lshrrev_b32_e32 v1, 6, v0
	s_lshl_b32 s2, s15, 2
	v_mov_b32_e32 v2, 0
	s_delay_alu instid0(VALU_DEP_2) | instskip(SKIP_1) | instid1(VALU_DEP_1)
	v_and_or_b32 v1, 0x3fffffc, s2, v1
	s_mov_b32 s2, exec_lo
	v_cmpx_gt_i64_e64 s[8:9], v[1:2]
	s_cbranch_execz .LBB5_35
; %bb.7:
	s_clause 0x2
	s_load_b128 s[12:15], s[0:1], 0x18
	s_load_b128 s[16:19], s[0:1], 0x38
	;; [unrolled: 1-line block ×3, first 2 shown]
	v_dual_mov_b32 v14, s11 :: v_dual_lshlrev_b32 v9, 3, v1
	v_mov_b32_e32 v13, s10
	s_mov_b32 s2, exec_lo
	s_waitcnt lgkmcnt(0)
	s_clause 0x2
	global_load_b128 v[1:4], v9, s[12:13]
	global_load_b128 v[5:8], v9, s[16:17]
	global_load_b64 v[11:12], v9, s[20:21]
	s_load_b64 s[12:13], s[0:1], 0x60
	s_waitcnt vmcnt(2)
	v_sub_co_u32 v9, vcc_lo, v1, s4
	v_subrev_co_ci_u32_e32 v10, vcc_lo, 0, v2, vcc_lo
	v_cmpx_lt_i64_e64 v[1:2], v[3:4]
	s_cbranch_execz .LBB5_9
; %bb.8:
	s_delay_alu instid0(VALU_DEP_2) | instskip(NEXT) | instid1(VALU_DEP_1)
	v_lshlrev_b64 v[1:2], 3, v[9:10]
	v_add_co_u32 v1, vcc_lo, s14, v1
	s_delay_alu instid0(VALU_DEP_2)
	v_add_co_ci_u32_e32 v2, vcc_lo, s15, v2, vcc_lo
	global_load_b64 v[1:2], v[1:2], off
	s_waitcnt vmcnt(0)
	v_sub_co_u32 v13, vcc_lo, v1, s4
	v_subrev_co_ci_u32_e32 v14, vcc_lo, 0, v2, vcc_lo
.LBB5_9:
	s_or_b32 exec_lo, exec_lo, s2
	s_clause 0x1
	s_load_b64 s[2:3], s[0:1], 0x48
	s_load_b64 s[8:9], s[0:1], 0x28
	s_waitcnt vmcnt(1)
	v_sub_co_u32 v15, vcc_lo, v5, s5
	v_subrev_co_ci_u32_e32 v16, vcc_lo, 0, v6, vcc_lo
	v_cmp_lt_i64_e32 vcc_lo, v[5:6], v[7:8]
	v_dual_mov_b32 v5, s10 :: v_dual_mov_b32 v6, s11
	s_mov_b32 s1, s5
	s_and_saveexec_b32 s0, vcc_lo
	s_cbranch_execz .LBB5_11
; %bb.10:
	v_lshlrev_b64 v[1:2], 3, v[15:16]
	s_delay_alu instid0(VALU_DEP_1) | instskip(NEXT) | instid1(VALU_DEP_2)
	v_add_co_u32 v1, vcc_lo, s18, v1
	v_add_co_ci_u32_e32 v2, vcc_lo, s19, v2, vcc_lo
	global_load_b64 v[1:2], v[1:2], off
	s_waitcnt vmcnt(0)
	v_sub_co_u32 v5, vcc_lo, v1, s1
	v_subrev_co_ci_u32_e32 v6, vcc_lo, 0, v2, vcc_lo
.LBB5_11:
	s_or_b32 exec_lo, exec_lo, s0
	v_and_b32_e32 v1, 0xc0, v0
	v_dual_mov_b32 v0, 0 :: v_dual_and_b32 v17, 63, v0
	s_waitcnt vmcnt(0)
	v_sub_co_u32 v27, s0, v11, s6
	s_delay_alu instid0(VALU_DEP_3)
	v_or_b32_e32 v25, 0x400, v1
	v_lshlrev_b32_e32 v26, 2, v1
	v_sub_co_u32 v1, vcc_lo, v3, s4
	v_subrev_co_ci_u32_e32 v2, vcc_lo, 0, v4, vcc_lo
	v_sub_co_u32 v3, vcc_lo, v7, s1
	v_subrev_co_ci_u32_e32 v4, vcc_lo, 0, v8, vcc_lo
	v_cmp_lt_i64_e32 vcc_lo, v[5:6], v[13:14]
	v_subrev_co_ci_u32_e64 v28, s0, 0, v12, s0
	v_add_nc_u32_e32 v37, v25, v17
	s_mov_b32 s5, 0
	v_dual_mov_b32 v38, 1 :: v_dual_cndmask_b32 v11, v13, v5
	v_mbcnt_lo_u32_b32 v13, -1, 0
	v_cndmask_b32_e32 v12, v14, v6, vcc_lo
	v_add_co_u32 v5, vcc_lo, v9, v17
	v_add_co_ci_u32_e32 v6, vcc_lo, 0, v10, vcc_lo
	s_delay_alu instid0(VALU_DEP_4) | instskip(SKIP_2) | instid1(VALU_DEP_3)
	v_or_b32_e32 v14, 32, v13
	v_add_co_u32 v7, vcc_lo, v15, v17
	v_add_co_ci_u32_e32 v8, vcc_lo, 0, v16, vcc_lo
	v_cmp_gt_i32_e32 vcc_lo, 32, v14
	v_xor_b32_e32 v15, 16, v13
	v_xor_b32_e32 v16, 4, v13
	;; [unrolled: 1-line block ×4, first 2 shown]
	v_cndmask_b32_e32 v14, v13, v14, vcc_lo
	v_cmp_gt_i32_e32 vcc_lo, 32, v15
	v_xor_b32_e32 v9, 63, v17
	s_delay_alu instid0(VALU_DEP_3) | instskip(SKIP_2) | instid1(VALU_DEP_4)
	v_lshlrev_b32_e32 v31, 2, v14
	v_xor_b32_e32 v14, 8, v13
	v_cndmask_b32_e32 v15, v13, v15, vcc_lo
	v_lshrrev_b64 v[9:10], v9, -1
	v_add_co_u32 v10, s0, s6, v17
	s_delay_alu instid0(VALU_DEP_4)
	v_cmp_gt_i32_e32 vcc_lo, 32, v14
	v_lshl_or_b32 v29, v17, 2, v26
	v_add_co_ci_u32_e64 v30, null, 0, 0, s0
	v_lshlrev_b32_e32 v32, 2, v15
	v_cndmask_b32_e32 v14, v13, v14, vcc_lo
	v_cmp_gt_i32_e32 vcc_lo, 32, v16
	s_add_u32 s6, s22, -8
	s_addc_u32 s7, s23, -1
	s_waitcnt lgkmcnt(0)
	s_add_u32 s12, s12, -4
	v_dual_cndmask_b32 v16, v13, v16 :: v_dual_lshlrev_b32 v33, 2, v14
	v_cmp_gt_i32_e32 vcc_lo, 32, v18
	s_addc_u32 s13, s13, -1
	s_delay_alu instid0(VALU_DEP_2) | instskip(SKIP_2) | instid1(VALU_DEP_2)
	v_lshlrev_b32_e32 v34, 2, v16
	v_cndmask_b32_e32 v18, v13, v18, vcc_lo
	v_cmp_gt_i32_e32 vcc_lo, 32, v19
	v_lshlrev_b32_e32 v35, 2, v18
	v_cndmask_b32_e32 v13, v13, v19, vcc_lo
	s_delay_alu instid0(VALU_DEP_1)
	v_lshlrev_b32_e32 v36, 2, v13
	s_branch .LBB5_13
.LBB5_12:                               ;   in Loop: Header=BB5_13 Depth=1
	s_or_b32 exec_lo, exec_lo, s16
	ds_bpermute_b32 v11, v31, v13
	ds_bpermute_b32 v12, v31, v14
	s_waitcnt lgkmcnt(0)
	v_cmp_lt_i64_e64 s0, v[11:12], v[13:14]
	s_delay_alu instid0(VALU_DEP_1)
	v_cndmask_b32_e64 v12, v14, v12, s0
	v_cndmask_b32_e64 v11, v13, v11, s0
	ds_bpermute_b32 v14, v32, v12
	ds_bpermute_b32 v13, v32, v11
	s_waitcnt lgkmcnt(0)
	v_cmp_lt_i64_e64 s0, v[13:14], v[11:12]
	s_delay_alu instid0(VALU_DEP_1)
	v_cndmask_b32_e64 v12, v12, v14, s0
	v_cndmask_b32_e64 v11, v11, v13, s0
	;; [unrolled: 7-line block ×5, first 2 shown]
	ds_bpermute_b32 v14, v36, v12
	ds_bpermute_b32 v13, v36, v11
	s_waitcnt lgkmcnt(0)
	v_cmp_lt_i64_e64 s0, v[13:14], v[11:12]
	s_delay_alu instid0(VALU_DEP_1) | instskip(SKIP_2) | instid1(SALU_CYCLE_1)
	v_cndmask_b32_e64 v12, v12, v14, s0
	v_cndmask_b32_e64 v11, v11, v13, s0
	s_bcnt1_i32_b32 s0, vcc_lo
	v_add_co_u32 v27, s0, s0, v27
	s_delay_alu instid0(VALU_DEP_2) | instskip(SKIP_2) | instid1(SALU_CYCLE_1)
	v_cmp_le_i64_e32 vcc_lo, s[10:11], v[11:12]
	v_add_co_ci_u32_e64 v28, s0, 0, v28, s0
	s_or_b32 s5, vcc_lo, s5
	s_and_not1_b32 exec_lo, exec_lo, s5
	s_cbranch_execz .LBB5_35
.LBB5_13:                               ; =>This Loop Header: Depth=1
                                        ;     Child Loop BB5_16 Depth 2
                                        ;     Child Loop BB5_26 Depth 2
	v_dual_mov_b32 v14, s11 :: v_dual_mov_b32 v13, s10
	s_mov_b32 s16, exec_lo
	ds_store_b8 v37, v0
	ds_store_b32 v29, v0
	s_waitcnt lgkmcnt(0)
	buffer_gl0_inv
	v_cmpx_lt_i64_e64 v[5:6], v[1:2]
	s_cbranch_execz .LBB5_23
; %bb.14:                               ;   in Loop: Header=BB5_13 Depth=1
	v_lshlrev_b64 v[13:14], 3, v[5:6]
	v_lshlrev_b64 v[17:18], 2, v[5:6]
	s_mov_b32 s17, 0
	s_delay_alu instid0(VALU_DEP_2) | instskip(NEXT) | instid1(VALU_DEP_3)
	v_add_co_u32 v15, vcc_lo, s14, v13
	v_add_co_ci_u32_e32 v16, vcc_lo, s15, v14, vcc_lo
	s_delay_alu instid0(VALU_DEP_3) | instskip(NEXT) | instid1(VALU_DEP_4)
	v_add_co_u32 v17, vcc_lo, s8, v17
	v_add_co_ci_u32_e32 v18, vcc_lo, s9, v18, vcc_lo
	v_dual_mov_b32 v14, s11 :: v_dual_mov_b32 v13, s10
	s_branch .LBB5_16
.LBB5_15:                               ;   in Loop: Header=BB5_16 Depth=2
	s_or_b32 exec_lo, exec_lo, s20
	s_delay_alu instid0(SALU_CYCLE_1) | instskip(NEXT) | instid1(SALU_CYCLE_1)
	s_and_b32 s0, exec_lo, s0
	s_or_b32 s17, s0, s17
	s_delay_alu instid0(SALU_CYCLE_1)
	s_and_not1_b32 exec_lo, exec_lo, s17
	s_cbranch_execz .LBB5_22
.LBB5_16:                               ;   Parent Loop BB5_13 Depth=1
                                        ; =>  This Inner Loop Header: Depth=2
	global_load_b64 v[19:20], v[15:16], off
	s_mov_b32 s20, exec_lo
	s_waitcnt vmcnt(0)
	v_sub_co_u32 v21, vcc_lo, v19, s4
	v_subrev_co_ci_u32_e32 v22, vcc_lo, 0, v20, vcc_lo
	s_delay_alu instid0(VALU_DEP_2) | instskip(NEXT) | instid1(VALU_DEP_2)
	v_sub_co_u32 v19, vcc_lo, v21, v11
	v_sub_co_ci_u32_e32 v20, vcc_lo, v22, v12, vcc_lo
	s_delay_alu instid0(VALU_DEP_1)
	v_cmp_gt_i64_e32 vcc_lo, 64, v[19:20]
	v_cmpx_lt_i64_e32 63, v[19:20]
	s_xor_b32 s20, exec_lo, s20
	s_cbranch_execnz .LBB5_19
; %bb.17:                               ;   in Loop: Header=BB5_16 Depth=2
	s_and_not1_saveexec_b32 s0, s20
	s_cbranch_execnz .LBB5_20
.LBB5_18:                               ;   in Loop: Header=BB5_16 Depth=2
	s_or_b32 exec_lo, exec_lo, s0
	s_mov_b32 s0, -1
	s_and_saveexec_b32 s20, vcc_lo
	s_cbranch_execz .LBB5_15
	s_branch .LBB5_21
.LBB5_19:                               ;   in Loop: Header=BB5_16 Depth=2
	v_cmp_lt_i64_e64 s0, v[21:22], v[13:14]
                                        ; implicit-def: $vgpr19
	s_delay_alu instid0(VALU_DEP_1)
	v_cndmask_b32_e64 v14, v14, v22, s0
	v_cndmask_b32_e64 v13, v13, v21, s0
	s_and_not1_saveexec_b32 s0, s20
	s_cbranch_execz .LBB5_18
.LBB5_20:                               ;   in Loop: Header=BB5_16 Depth=2
	global_load_b32 v20, v[17:18], off
	v_add_nc_u32_e32 v21, v25, v19
	v_lshl_add_u32 v19, v19, 2, v26
	s_waitcnt vmcnt(0)
	v_mul_f32_e32 v20, v23, v20
	ds_store_b8 v21, v38
	ds_store_b32 v19, v20
	s_or_b32 exec_lo, exec_lo, s0
	s_mov_b32 s0, -1
	s_and_saveexec_b32 s20, vcc_lo
	s_cbranch_execz .LBB5_15
.LBB5_21:                               ;   in Loop: Header=BB5_16 Depth=2
	v_add_co_u32 v5, vcc_lo, v5, 64
	v_add_co_ci_u32_e32 v6, vcc_lo, 0, v6, vcc_lo
	v_add_co_u32 v15, vcc_lo, 0x200, v15
	v_add_co_ci_u32_e32 v16, vcc_lo, 0, v16, vcc_lo
	s_delay_alu instid0(VALU_DEP_3) | instskip(SKIP_1) | instid1(VALU_DEP_1)
	v_cmp_ge_i64_e32 vcc_lo, v[5:6], v[1:2]
	v_add_co_u32 v17, s0, 0x100, v17
	v_add_co_ci_u32_e64 v18, s0, 0, v18, s0
	s_or_not1_b32 s0, vcc_lo, exec_lo
	s_branch .LBB5_15
.LBB5_22:                               ;   in Loop: Header=BB5_13 Depth=1
	s_or_b32 exec_lo, exec_lo, s17
.LBB5_23:                               ;   in Loop: Header=BB5_13 Depth=1
	s_delay_alu instid0(SALU_CYCLE_1) | instskip(NEXT) | instid1(SALU_CYCLE_1)
	s_or_b32 exec_lo, exec_lo, s16
	s_mov_b32 s16, exec_lo
	s_waitcnt lgkmcnt(0)
	buffer_gl0_inv
	v_cmpx_lt_i64_e64 v[7:8], v[3:4]
	s_cbranch_execz .LBB5_33
; %bb.24:                               ;   in Loop: Header=BB5_13 Depth=1
	v_lshlrev_b64 v[15:16], 3, v[7:8]
	v_lshlrev_b64 v[17:18], 2, v[7:8]
	s_mov_b32 s17, 0
	s_delay_alu instid0(VALU_DEP_2) | instskip(NEXT) | instid1(VALU_DEP_3)
	v_add_co_u32 v15, vcc_lo, s18, v15
	v_add_co_ci_u32_e32 v16, vcc_lo, s19, v16, vcc_lo
	s_delay_alu instid0(VALU_DEP_3) | instskip(NEXT) | instid1(VALU_DEP_4)
	v_add_co_u32 v17, vcc_lo, s2, v17
	v_add_co_ci_u32_e32 v18, vcc_lo, s3, v18, vcc_lo
	s_branch .LBB5_26
.LBB5_25:                               ;   in Loop: Header=BB5_26 Depth=2
	s_or_b32 exec_lo, exec_lo, s20
	s_delay_alu instid0(SALU_CYCLE_1) | instskip(NEXT) | instid1(SALU_CYCLE_1)
	s_and_b32 s0, exec_lo, s0
	s_or_b32 s17, s0, s17
	s_delay_alu instid0(SALU_CYCLE_1)
	s_and_not1_b32 exec_lo, exec_lo, s17
	s_cbranch_execz .LBB5_32
.LBB5_26:                               ;   Parent Loop BB5_13 Depth=1
                                        ; =>  This Inner Loop Header: Depth=2
	global_load_b64 v[19:20], v[15:16], off
	s_mov_b32 s20, exec_lo
	s_waitcnt vmcnt(0)
	v_sub_co_u32 v21, vcc_lo, v19, s1
	v_subrev_co_ci_u32_e32 v22, vcc_lo, 0, v20, vcc_lo
	s_delay_alu instid0(VALU_DEP_2) | instskip(NEXT) | instid1(VALU_DEP_2)
	v_sub_co_u32 v19, vcc_lo, v21, v11
	v_sub_co_ci_u32_e32 v20, vcc_lo, v22, v12, vcc_lo
	s_delay_alu instid0(VALU_DEP_1)
	v_cmp_gt_i64_e32 vcc_lo, 64, v[19:20]
	v_cmpx_lt_i64_e32 63, v[19:20]
	s_xor_b32 s20, exec_lo, s20
	s_cbranch_execnz .LBB5_29
; %bb.27:                               ;   in Loop: Header=BB5_26 Depth=2
	s_and_not1_saveexec_b32 s0, s20
	s_cbranch_execnz .LBB5_30
.LBB5_28:                               ;   in Loop: Header=BB5_26 Depth=2
	s_or_b32 exec_lo, exec_lo, s0
	s_mov_b32 s0, -1
	s_and_saveexec_b32 s20, vcc_lo
	s_cbranch_execz .LBB5_25
	s_branch .LBB5_31
.LBB5_29:                               ;   in Loop: Header=BB5_26 Depth=2
	v_cmp_lt_i64_e64 s0, v[21:22], v[13:14]
                                        ; implicit-def: $vgpr19
	s_delay_alu instid0(VALU_DEP_1)
	v_cndmask_b32_e64 v14, v14, v22, s0
	v_cndmask_b32_e64 v13, v13, v21, s0
	s_and_not1_saveexec_b32 s0, s20
	s_cbranch_execz .LBB5_28
.LBB5_30:                               ;   in Loop: Header=BB5_26 Depth=2
	global_load_b32 v20, v[17:18], off
	v_lshl_add_u32 v21, v19, 2, v26
	ds_load_b32 v22, v21
	s_waitcnt vmcnt(0) lgkmcnt(0)
	v_dual_fmac_f32 v22, v24, v20 :: v_dual_add_nc_u32 v19, v25, v19
	ds_store_b8 v19, v38
	ds_store_b32 v21, v22
	s_or_b32 exec_lo, exec_lo, s0
	s_mov_b32 s0, -1
	s_and_saveexec_b32 s20, vcc_lo
	s_cbranch_execz .LBB5_25
.LBB5_31:                               ;   in Loop: Header=BB5_26 Depth=2
	v_add_co_u32 v7, vcc_lo, v7, 64
	v_add_co_ci_u32_e32 v8, vcc_lo, 0, v8, vcc_lo
	v_add_co_u32 v15, vcc_lo, 0x200, v15
	v_add_co_ci_u32_e32 v16, vcc_lo, 0, v16, vcc_lo
	s_delay_alu instid0(VALU_DEP_3) | instskip(SKIP_1) | instid1(VALU_DEP_1)
	v_cmp_ge_i64_e32 vcc_lo, v[7:8], v[3:4]
	v_add_co_u32 v17, s0, 0x100, v17
	v_add_co_ci_u32_e64 v18, s0, 0, v18, s0
	s_or_not1_b32 s0, vcc_lo, exec_lo
	s_branch .LBB5_25
.LBB5_32:                               ;   in Loop: Header=BB5_13 Depth=1
	s_or_b32 exec_lo, exec_lo, s17
.LBB5_33:                               ;   in Loop: Header=BB5_13 Depth=1
	s_delay_alu instid0(SALU_CYCLE_1)
	s_or_b32 exec_lo, exec_lo, s16
	s_waitcnt lgkmcnt(0)
	buffer_gl0_inv
	ds_load_u8 v15, v37
	s_mov_b32 s16, exec_lo
	s_waitcnt lgkmcnt(0)
	v_and_b32_e32 v16, 1, v15
	v_cmp_ne_u16_e32 vcc_lo, 0, v15
	s_delay_alu instid0(VALU_DEP_2)
	v_cmpx_eq_u32_e32 1, v16
	s_cbranch_execz .LBB5_12
; %bb.34:                               ;   in Loop: Header=BB5_13 Depth=1
	v_and_b32_e32 v15, vcc_lo, v9
	ds_load_b32 v19, v29
	v_bcnt_u32_b32 v15, v15, 0
	s_delay_alu instid0(VALU_DEP_1) | instskip(NEXT) | instid1(VALU_DEP_1)
	v_add_co_u32 v15, s0, v27, v15
	v_add_co_ci_u32_e64 v16, s0, 0, v28, s0
	v_add_co_u32 v11, s0, v10, v11
	s_delay_alu instid0(VALU_DEP_1) | instskip(NEXT) | instid1(VALU_DEP_3)
	v_add_co_ci_u32_e64 v12, s0, v30, v12, s0
	v_lshlrev_b64 v[17:18], 3, v[15:16]
	v_lshlrev_b64 v[15:16], 2, v[15:16]
	s_delay_alu instid0(VALU_DEP_2) | instskip(NEXT) | instid1(VALU_DEP_1)
	v_add_co_u32 v17, s0, s6, v17
	v_add_co_ci_u32_e64 v18, s0, s7, v18, s0
	s_delay_alu instid0(VALU_DEP_3) | instskip(NEXT) | instid1(VALU_DEP_1)
	v_add_co_u32 v15, s0, s12, v15
	v_add_co_ci_u32_e64 v16, s0, s13, v16, s0
	global_store_b64 v[17:18], v[11:12], off
	s_waitcnt lgkmcnt(0)
	global_store_b32 v[15:16], v19, off
	s_branch .LBB5_12
.LBB5_35:
	s_nop 0
	s_sendmsg sendmsg(MSG_DEALLOC_VGPRS)
	s_endpgm
	.section	.rodata,"a",@progbits
	.p2align	6, 0x0
	.amdhsa_kernel _ZN9rocsparseL29csrgeam_fill_multipass_kernelILj256ELj64EllfEEvllNS_24const_host_device_scalarIT3_EEPKT1_PKT2_PKS2_S3_S6_S9_SB_S6_PS7_PS2_21rocsparse_index_base_SE_SE_bbb
		.amdhsa_group_segment_fixed_size 1280
		.amdhsa_private_segment_fixed_size 0
		.amdhsa_kernarg_size 120
		.amdhsa_user_sgpr_count 15
		.amdhsa_user_sgpr_dispatch_ptr 0
		.amdhsa_user_sgpr_queue_ptr 0
		.amdhsa_user_sgpr_kernarg_segment_ptr 1
		.amdhsa_user_sgpr_dispatch_id 0
		.amdhsa_user_sgpr_private_segment_size 0
		.amdhsa_wavefront_size32 1
		.amdhsa_uses_dynamic_stack 0
		.amdhsa_enable_private_segment 0
		.amdhsa_system_sgpr_workgroup_id_x 1
		.amdhsa_system_sgpr_workgroup_id_y 0
		.amdhsa_system_sgpr_workgroup_id_z 0
		.amdhsa_system_sgpr_workgroup_info 0
		.amdhsa_system_vgpr_workitem_id 0
		.amdhsa_next_free_vgpr 39
		.amdhsa_next_free_sgpr 24
		.amdhsa_reserve_vcc 1
		.amdhsa_float_round_mode_32 0
		.amdhsa_float_round_mode_16_64 0
		.amdhsa_float_denorm_mode_32 3
		.amdhsa_float_denorm_mode_16_64 3
		.amdhsa_dx10_clamp 1
		.amdhsa_ieee_mode 1
		.amdhsa_fp16_overflow 0
		.amdhsa_workgroup_processor_mode 1
		.amdhsa_memory_ordered 1
		.amdhsa_forward_progress 0
		.amdhsa_shared_vgpr_count 0
		.amdhsa_exception_fp_ieee_invalid_op 0
		.amdhsa_exception_fp_denorm_src 0
		.amdhsa_exception_fp_ieee_div_zero 0
		.amdhsa_exception_fp_ieee_overflow 0
		.amdhsa_exception_fp_ieee_underflow 0
		.amdhsa_exception_fp_ieee_inexact 0
		.amdhsa_exception_int_div_zero 0
	.end_amdhsa_kernel
	.section	.text._ZN9rocsparseL29csrgeam_fill_multipass_kernelILj256ELj64EllfEEvllNS_24const_host_device_scalarIT3_EEPKT1_PKT2_PKS2_S3_S6_S9_SB_S6_PS7_PS2_21rocsparse_index_base_SE_SE_bbb,"axG",@progbits,_ZN9rocsparseL29csrgeam_fill_multipass_kernelILj256ELj64EllfEEvllNS_24const_host_device_scalarIT3_EEPKT1_PKT2_PKS2_S3_S6_S9_SB_S6_PS7_PS2_21rocsparse_index_base_SE_SE_bbb,comdat
.Lfunc_end5:
	.size	_ZN9rocsparseL29csrgeam_fill_multipass_kernelILj256ELj64EllfEEvllNS_24const_host_device_scalarIT3_EEPKT1_PKT2_PKS2_S3_S6_S9_SB_S6_PS7_PS2_21rocsparse_index_base_SE_SE_bbb, .Lfunc_end5-_ZN9rocsparseL29csrgeam_fill_multipass_kernelILj256ELj64EllfEEvllNS_24const_host_device_scalarIT3_EEPKT1_PKT2_PKS2_S3_S6_S9_SB_S6_PS7_PS2_21rocsparse_index_base_SE_SE_bbb
                                        ; -- End function
	.section	.AMDGPU.csdata,"",@progbits
; Kernel info:
; codeLenInByte = 2128
; NumSgprs: 26
; NumVgprs: 39
; ScratchSize: 0
; MemoryBound: 0
; FloatMode: 240
; IeeeMode: 1
; LDSByteSize: 1280 bytes/workgroup (compile time only)
; SGPRBlocks: 3
; VGPRBlocks: 4
; NumSGPRsForWavesPerEU: 26
; NumVGPRsForWavesPerEU: 39
; Occupancy: 16
; WaveLimiterHint : 1
; COMPUTE_PGM_RSRC2:SCRATCH_EN: 0
; COMPUTE_PGM_RSRC2:USER_SGPR: 15
; COMPUTE_PGM_RSRC2:TRAP_HANDLER: 0
; COMPUTE_PGM_RSRC2:TGID_X_EN: 1
; COMPUTE_PGM_RSRC2:TGID_Y_EN: 0
; COMPUTE_PGM_RSRC2:TGID_Z_EN: 0
; COMPUTE_PGM_RSRC2:TIDIG_COMP_CNT: 0
	.section	.text._ZN9rocsparseL29csrgeam_fill_multipass_kernelILj256ELj32EiidEEvllNS_24const_host_device_scalarIT3_EEPKT1_PKT2_PKS2_S3_S6_S9_SB_S6_PS7_PS2_21rocsparse_index_base_SE_SE_bbb,"axG",@progbits,_ZN9rocsparseL29csrgeam_fill_multipass_kernelILj256ELj32EiidEEvllNS_24const_host_device_scalarIT3_EEPKT1_PKT2_PKS2_S3_S6_S9_SB_S6_PS7_PS2_21rocsparse_index_base_SE_SE_bbb,comdat
	.globl	_ZN9rocsparseL29csrgeam_fill_multipass_kernelILj256ELj32EiidEEvllNS_24const_host_device_scalarIT3_EEPKT1_PKT2_PKS2_S3_S6_S9_SB_S6_PS7_PS2_21rocsparse_index_base_SE_SE_bbb ; -- Begin function _ZN9rocsparseL29csrgeam_fill_multipass_kernelILj256ELj32EiidEEvllNS_24const_host_device_scalarIT3_EEPKT1_PKT2_PKS2_S3_S6_S9_SB_S6_PS7_PS2_21rocsparse_index_base_SE_SE_bbb
	.p2align	8
	.type	_ZN9rocsparseL29csrgeam_fill_multipass_kernelILj256ELj32EiidEEvllNS_24const_host_device_scalarIT3_EEPKT1_PKT2_PKS2_S3_S6_S9_SB_S6_PS7_PS2_21rocsparse_index_base_SE_SE_bbb,@function
_ZN9rocsparseL29csrgeam_fill_multipass_kernelILj256ELj32EiidEEvllNS_24const_host_device_scalarIT3_EEPKT1_PKT2_PKS2_S3_S6_S9_SB_S6_PS7_PS2_21rocsparse_index_base_SE_SE_bbb: ; @_ZN9rocsparseL29csrgeam_fill_multipass_kernelILj256ELj32EiidEEvllNS_24const_host_device_scalarIT3_EEPKT1_PKT2_PKS2_S3_S6_S9_SB_S6_PS7_PS2_21rocsparse_index_base_SE_SE_bbb
; %bb.0:
	s_clause 0x4
	s_load_b128 s[4:7], s[0:1], 0x68
	s_load_b32 s14, s[0:1], 0x74
	s_load_b64 s[12:13], s[0:1], 0x10
	s_load_b64 s[2:3], s[0:1], 0x30
	s_load_b128 s[8:11], s[0:1], 0x0
	s_waitcnt lgkmcnt(0)
	s_and_b32 s16, 1, s7
	s_bitcmp1_b32 s14, 16
	s_cselect_b32 s7, -1, 0
	s_cmp_eq_u32 s16, 1
	s_cselect_b32 s18, -1, 0
	s_delay_alu instid0(SALU_CYCLE_1)
	s_and_b32 s16, s18, exec_lo
	s_cselect_b32 s17, s13, 0
	s_cselect_b32 s16, s12, 0
	s_xor_b32 s18, s18, -1
	v_dual_mov_b32 v1, s16 :: v_dual_mov_b32 v2, s17
	s_or_b32 s18, s18, s7
	s_delay_alu instid0(SALU_CYCLE_1)
	s_and_b32 vcc_lo, exec_lo, s18
	s_cbranch_vccnz .LBB6_2
; %bb.1:
	v_dual_mov_b32 v1, s12 :: v_dual_mov_b32 v2, s13
	flat_load_b64 v[1:2], v[1:2]
.LBB6_2:
	s_bitcmp1_b32 s14, 8
	s_cselect_b32 s14, -1, 0
	s_delay_alu instid0(SALU_CYCLE_1)
	s_and_b32 s12, s14, exec_lo
	s_cselect_b32 s13, s3, 0
	s_cselect_b32 s12, s2, 0
	s_xor_b32 s14, s14, -1
	v_dual_mov_b32 v3, s12 :: v_dual_mov_b32 v4, s13
	s_or_b32 s7, s14, s7
	s_delay_alu instid0(SALU_CYCLE_1)
	s_and_b32 vcc_lo, exec_lo, s7
	s_cbranch_vccnz .LBB6_4
; %bb.3:
	v_dual_mov_b32 v4, s3 :: v_dual_mov_b32 v3, s2
	flat_load_b64 v[3:4], v[3:4]
.LBB6_4:
	v_lshrrev_b32_e32 v5, 5, v0
	s_lshl_b32 s2, s15, 3
	v_mov_b32_e32 v6, 0
	s_delay_alu instid0(VALU_DEP_2) | instskip(SKIP_1) | instid1(VALU_DEP_1)
	v_and_or_b32 v5, 0x7fffff8, s2, v5
	s_mov_b32 s2, exec_lo
	v_cmpx_gt_i64_e64 s[8:9], v[5:6]
	s_cbranch_execz .LBB6_33
; %bb.5:
	s_clause 0x2
	s_load_b128 s[12:15], s[0:1], 0x18
	s_load_b64 s[2:3], s[0:1], 0x38
	s_load_b64 s[8:9], s[0:1], 0x50
	v_lshlrev_b32_e32 v7, 2, v5
	s_waitcnt lgkmcnt(0)
	s_clause 0x2
	global_load_b64 v[8:9], v7, s[12:13]
	global_load_b64 v[5:6], v7, s[2:3]
	global_load_b32 v12, v7, s[8:9]
	s_mov_b32 s2, exec_lo
	s_waitcnt vmcnt(2)
	v_cmpx_ge_i32_e64 v8, v9
	s_xor_b32 s2, exec_lo, s2
	s_delay_alu instid0(SALU_CYCLE_1)
	s_or_saveexec_b32 s2, s2
	v_subrev_nc_u32_e32 v7, s4, v8
	v_mov_b32_e32 v8, s10
	s_xor_b32 exec_lo, exec_lo, s2
	s_cbranch_execz .LBB6_7
; %bb.6:
	s_delay_alu instid0(VALU_DEP_2) | instskip(NEXT) | instid1(VALU_DEP_1)
	v_ashrrev_i32_e32 v8, 31, v7
	v_lshlrev_b64 v[10:11], 2, v[7:8]
	s_delay_alu instid0(VALU_DEP_1) | instskip(NEXT) | instid1(VALU_DEP_2)
	v_add_co_u32 v10, vcc_lo, s14, v10
	v_add_co_ci_u32_e32 v11, vcc_lo, s15, v11, vcc_lo
	global_load_b32 v8, v[10:11], off
	s_waitcnt vmcnt(0)
	v_subrev_nc_u32_e32 v8, s4, v8
.LBB6_7:
	s_or_b32 exec_lo, exec_lo, s2
	s_load_b64 s[2:3], s[0:1], 0x40
	s_mov_b32 s7, exec_lo
	s_waitcnt vmcnt(1)
	v_cmpx_ge_i32_e64 v5, v6
	s_xor_b32 s7, exec_lo, s7
	s_delay_alu instid0(SALU_CYCLE_1)
	s_or_saveexec_b32 s7, s7
	s_clause 0x2
	s_load_b128 s[16:19], s[0:1], 0x58
	s_load_b64 s[8:9], s[0:1], 0x48
	s_load_b64 s[12:13], s[0:1], 0x28
	v_mov_b32_e32 v14, s10
	v_subrev_nc_u32_e32 v10, s5, v5
	v_mov_b32_e32 v5, s10
	s_xor_b32 exec_lo, exec_lo, s7
	s_cbranch_execz .LBB6_9
; %bb.8:
	s_delay_alu instid0(VALU_DEP_2) | instskip(NEXT) | instid1(VALU_DEP_1)
	v_ashrrev_i32_e32 v11, 31, v10
	v_lshlrev_b64 v[13:14], 2, v[10:11]
	s_waitcnt lgkmcnt(0)
	s_delay_alu instid0(VALU_DEP_1) | instskip(NEXT) | instid1(VALU_DEP_2)
	v_add_co_u32 v13, vcc_lo, s2, v13
	v_add_co_ci_u32_e32 v14, vcc_lo, s3, v14, vcc_lo
	global_load_b32 v5, v[13:14], off
	v_mov_b32_e32 v14, s10
	s_waitcnt vmcnt(0)
	v_subrev_nc_u32_e32 v5, s5, v5
.LBB6_9:
	s_or_b32 exec_lo, exec_lo, s7
	v_mbcnt_lo_u32_b32 v23, -1, 0
	v_subrev_nc_u32_e32 v17, s5, v6
	v_subrev_nc_u32_e32 v15, s4, v9
	v_min_i32_e32 v9, v5, v8
	s_waitcnt vmcnt(0)
	v_subrev_nc_u32_e32 v18, s6, v12
	v_xor_b32_e32 v6, 16, v23
	s_mov_b32 s1, 0
	v_mov_b32_e32 v28, 1
	s_delay_alu instid0(VALU_DEP_2) | instskip(SKIP_1) | instid1(VALU_DEP_1)
	v_cmp_gt_i32_e32 vcc_lo, 32, v6
	v_dual_cndmask_b32 v6, v23, v6 :: v_dual_and_b32 v11, 0xe0, v0
	v_lshlrev_b32_e32 v16, 3, v11
	s_delay_alu instid0(VALU_DEP_2) | instskip(SKIP_4) | instid1(VALU_DEP_3)
	v_lshlrev_b32_e32 v22, 2, v6
	v_xor_b32_e32 v6, 4, v23
	v_and_b32_e32 v13, 31, v0
	v_or_b32_e32 v0, 0x800, v11
	v_xor_b32_e32 v11, 1, v23
	v_xor_b32_e32 v8, 31, v13
	s_delay_alu instid0(VALU_DEP_1) | instskip(SKIP_1) | instid1(VALU_DEP_1)
	v_lshrrev_b32_e64 v20, v8, -1
	v_xor_b32_e32 v8, 8, v23
	v_cmp_gt_i32_e32 vcc_lo, 32, v8
	v_cndmask_b32_e32 v8, v23, v8, vcc_lo
	v_cmp_gt_i32_e32 vcc_lo, 32, v6
	v_cndmask_b32_e32 v6, v23, v6, vcc_lo
	v_add_nc_u32_e32 v5, v7, v13
	v_add_nc_u32_e32 v7, v10, v13
	v_xor_b32_e32 v10, 2, v23
	v_add_nc_u32_e32 v27, v0, v13
	v_lshlrev_b32_e32 v24, 2, v6
	s_delay_alu instid0(VALU_DEP_3) | instskip(SKIP_3) | instid1(VALU_DEP_3)
	v_cmp_gt_i32_e32 vcc_lo, 32, v10
	v_cndmask_b32_e32 v10, v23, v10, vcc_lo
	v_cmp_gt_i32_e32 vcc_lo, 32, v11
	v_add_nc_u32_e32 v21, s6, v13
	v_dual_cndmask_b32 v12, v23, v11 :: v_dual_lshlrev_b32 v25, 2, v10
	v_mov_b32_e32 v11, 0
	v_lshl_or_b32 v19, v13, 3, v16
	v_lshlrev_b32_e32 v23, 2, v8
	s_delay_alu instid0(VALU_DEP_4) | instskip(NEXT) | instid1(VALU_DEP_4)
	v_lshlrev_b32_e32 v26, 2, v12
	v_mov_b32_e32 v12, v11
	v_mov_b32_e32 v13, v11
	s_branch .LBB6_11
.LBB6_10:                               ;   in Loop: Header=BB6_11 Depth=1
	s_or_b32 exec_lo, exec_lo, s6
	ds_bpermute_b32 v6, v22, v29
	s_bcnt1_i32_b32 s6, vcc_lo
	s_delay_alu instid0(SALU_CYCLE_1)
	v_add_nc_u32_e32 v18, s6, v18
	s_waitcnt lgkmcnt(0)
	v_min_i32_e32 v6, v6, v29
	ds_bpermute_b32 v8, v23, v6
	s_waitcnt lgkmcnt(0)
	v_min_i32_e32 v6, v8, v6
	ds_bpermute_b32 v8, v24, v6
	;; [unrolled: 3-line block ×4, first 2 shown]
	s_waitcnt lgkmcnt(0)
	v_min_i32_e32 v9, v8, v6
	s_delay_alu instid0(VALU_DEP_1) | instskip(NEXT) | instid1(VALU_DEP_1)
	v_ashrrev_i32_e32 v10, 31, v9
	v_cmp_le_i64_e64 s0, s[10:11], v[9:10]
	s_delay_alu instid0(VALU_DEP_1) | instskip(NEXT) | instid1(SALU_CYCLE_1)
	s_or_b32 s1, s0, s1
	s_and_not1_b32 exec_lo, exec_lo, s1
	s_cbranch_execz .LBB6_33
.LBB6_11:                               ; =>This Loop Header: Depth=1
                                        ;     Child Loop BB6_14 Depth 2
                                        ;     Child Loop BB6_24 Depth 2
	v_mov_b32_e32 v29, v14
	s_mov_b32 s6, exec_lo
	ds_store_b8 v27, v11
	ds_store_b64 v19, v[12:13]
	s_waitcnt lgkmcnt(0)
	buffer_gl0_inv
	v_cmpx_lt_i32_e64 v5, v15
	s_cbranch_execz .LBB6_21
; %bb.12:                               ;   in Loop: Header=BB6_11 Depth=1
	v_mov_b32_e32 v29, v14
	s_mov_b32 s7, 0
	s_branch .LBB6_14
.LBB6_13:                               ;   in Loop: Header=BB6_14 Depth=2
	s_or_b32 exec_lo, exec_lo, s20
	s_delay_alu instid0(SALU_CYCLE_1) | instskip(NEXT) | instid1(SALU_CYCLE_1)
	s_and_b32 s0, exec_lo, s0
	s_or_b32 s7, s0, s7
	s_delay_alu instid0(SALU_CYCLE_1)
	s_and_not1_b32 exec_lo, exec_lo, s7
	s_cbranch_execz .LBB6_20
.LBB6_14:                               ;   Parent Loop BB6_11 Depth=1
                                        ; =>  This Inner Loop Header: Depth=2
	v_ashrrev_i32_e32 v6, 31, v5
	s_delay_alu instid0(VALU_DEP_1) | instskip(NEXT) | instid1(VALU_DEP_1)
	v_lshlrev_b64 v[30:31], 2, v[5:6]
	v_add_co_u32 v30, vcc_lo, s14, v30
	s_delay_alu instid0(VALU_DEP_2) | instskip(SKIP_3) | instid1(VALU_DEP_1)
	v_add_co_ci_u32_e32 v31, vcc_lo, s15, v31, vcc_lo
	global_load_b32 v8, v[30:31], off
	s_waitcnt vmcnt(0)
	v_subrev_nc_u32_e32 v10, s4, v8
	v_sub_nc_u32_e32 v8, v10, v9
	s_delay_alu instid0(VALU_DEP_1) | instskip(SKIP_1) | instid1(VALU_DEP_1)
	v_cmp_gt_u32_e32 vcc_lo, 32, v8
	v_cmp_lt_u32_e64 s0, 31, v8
	s_and_saveexec_b32 s20, s0
	s_delay_alu instid0(SALU_CYCLE_1)
	s_xor_b32 s0, exec_lo, s20
	s_cbranch_execnz .LBB6_17
; %bb.15:                               ;   in Loop: Header=BB6_14 Depth=2
	s_and_not1_saveexec_b32 s20, s0
	s_cbranch_execnz .LBB6_18
.LBB6_16:                               ;   in Loop: Header=BB6_14 Depth=2
	s_or_b32 exec_lo, exec_lo, s20
	s_mov_b32 s0, -1
	s_and_saveexec_b32 s20, vcc_lo
	s_cbranch_execz .LBB6_13
	s_branch .LBB6_19
.LBB6_17:                               ;   in Loop: Header=BB6_14 Depth=2
	v_min_i32_e32 v29, v10, v29
                                        ; implicit-def: $vgpr8
	s_and_not1_saveexec_b32 s20, s0
	s_cbranch_execz .LBB6_16
.LBB6_18:                               ;   in Loop: Header=BB6_14 Depth=2
	v_lshlrev_b64 v[30:31], 3, v[5:6]
	v_add_nc_u32_e32 v6, v0, v8
	v_lshl_add_u32 v8, v8, 3, v16
	s_delay_alu instid0(VALU_DEP_3) | instskip(NEXT) | instid1(VALU_DEP_1)
	v_add_co_u32 v30, s0, s12, v30
	v_add_co_ci_u32_e64 v31, s0, s13, v31, s0
	global_load_b64 v[30:31], v[30:31], off
	s_waitcnt vmcnt(0)
	v_mul_f64 v[30:31], v[1:2], v[30:31]
	ds_store_b8 v6, v28
	ds_store_b64 v8, v[30:31]
	s_or_b32 exec_lo, exec_lo, s20
	s_mov_b32 s0, -1
	s_and_saveexec_b32 s20, vcc_lo
	s_cbranch_execz .LBB6_13
.LBB6_19:                               ;   in Loop: Header=BB6_14 Depth=2
	v_add_nc_u32_e32 v5, 32, v5
	s_delay_alu instid0(VALU_DEP_1)
	v_cmp_ge_i32_e32 vcc_lo, v5, v15
	s_or_not1_b32 s0, vcc_lo, exec_lo
	s_branch .LBB6_13
.LBB6_20:                               ;   in Loop: Header=BB6_11 Depth=1
	s_or_b32 exec_lo, exec_lo, s7
.LBB6_21:                               ;   in Loop: Header=BB6_11 Depth=1
	s_delay_alu instid0(SALU_CYCLE_1) | instskip(NEXT) | instid1(SALU_CYCLE_1)
	s_or_b32 exec_lo, exec_lo, s6
	s_mov_b32 s6, exec_lo
	s_waitcnt lgkmcnt(0)
	buffer_gl0_inv
	v_cmpx_lt_i32_e64 v7, v17
	s_cbranch_execz .LBB6_31
; %bb.22:                               ;   in Loop: Header=BB6_11 Depth=1
	s_mov_b32 s7, 0
	s_branch .LBB6_24
.LBB6_23:                               ;   in Loop: Header=BB6_24 Depth=2
	s_or_b32 exec_lo, exec_lo, s20
	s_delay_alu instid0(SALU_CYCLE_1) | instskip(NEXT) | instid1(SALU_CYCLE_1)
	s_and_b32 s0, exec_lo, s0
	s_or_b32 s7, s0, s7
	s_delay_alu instid0(SALU_CYCLE_1)
	s_and_not1_b32 exec_lo, exec_lo, s7
	s_cbranch_execz .LBB6_30
.LBB6_24:                               ;   Parent Loop BB6_11 Depth=1
                                        ; =>  This Inner Loop Header: Depth=2
	v_ashrrev_i32_e32 v8, 31, v7
	s_delay_alu instid0(VALU_DEP_1) | instskip(NEXT) | instid1(VALU_DEP_1)
	v_lshlrev_b64 v[30:31], 2, v[7:8]
	v_add_co_u32 v30, vcc_lo, s2, v30
	s_delay_alu instid0(VALU_DEP_2) | instskip(SKIP_3) | instid1(VALU_DEP_1)
	v_add_co_ci_u32_e32 v31, vcc_lo, s3, v31, vcc_lo
	global_load_b32 v6, v[30:31], off
	s_waitcnt vmcnt(0)
	v_subrev_nc_u32_e32 v10, s5, v6
	v_sub_nc_u32_e32 v6, v10, v9
	s_delay_alu instid0(VALU_DEP_1) | instskip(SKIP_1) | instid1(VALU_DEP_1)
	v_cmp_gt_u32_e32 vcc_lo, 32, v6
	v_cmp_lt_u32_e64 s0, 31, v6
	s_and_saveexec_b32 s20, s0
	s_delay_alu instid0(SALU_CYCLE_1)
	s_xor_b32 s0, exec_lo, s20
	s_cbranch_execnz .LBB6_27
; %bb.25:                               ;   in Loop: Header=BB6_24 Depth=2
	s_and_not1_saveexec_b32 s20, s0
	s_cbranch_execnz .LBB6_28
.LBB6_26:                               ;   in Loop: Header=BB6_24 Depth=2
	s_or_b32 exec_lo, exec_lo, s20
	s_mov_b32 s0, -1
	s_and_saveexec_b32 s20, vcc_lo
	s_cbranch_execz .LBB6_23
	s_branch .LBB6_29
.LBB6_27:                               ;   in Loop: Header=BB6_24 Depth=2
	v_min_i32_e32 v29, v10, v29
                                        ; implicit-def: $vgpr6
	s_and_not1_saveexec_b32 s20, s0
	s_cbranch_execz .LBB6_26
.LBB6_28:                               ;   in Loop: Header=BB6_24 Depth=2
	v_lshlrev_b64 v[30:31], 3, v[7:8]
	v_lshl_add_u32 v8, v6, 3, v16
	v_add_nc_u32_e32 v6, v0, v6
	ds_load_b64 v[32:33], v8
	v_add_co_u32 v30, s0, s8, v30
	s_delay_alu instid0(VALU_DEP_1)
	v_add_co_ci_u32_e64 v31, s0, s9, v31, s0
	global_load_b64 v[30:31], v[30:31], off
	s_waitcnt vmcnt(0) lgkmcnt(0)
	v_fma_f64 v[30:31], v[3:4], v[30:31], v[32:33]
	ds_store_b8 v6, v28
	ds_store_b64 v8, v[30:31]
	s_or_b32 exec_lo, exec_lo, s20
	s_mov_b32 s0, -1
	s_and_saveexec_b32 s20, vcc_lo
	s_cbranch_execz .LBB6_23
.LBB6_29:                               ;   in Loop: Header=BB6_24 Depth=2
	v_add_nc_u32_e32 v7, 32, v7
	s_delay_alu instid0(VALU_DEP_1)
	v_cmp_ge_i32_e32 vcc_lo, v7, v17
	s_or_not1_b32 s0, vcc_lo, exec_lo
	s_branch .LBB6_23
.LBB6_30:                               ;   in Loop: Header=BB6_11 Depth=1
	s_or_b32 exec_lo, exec_lo, s7
.LBB6_31:                               ;   in Loop: Header=BB6_11 Depth=1
	s_delay_alu instid0(SALU_CYCLE_1)
	s_or_b32 exec_lo, exec_lo, s6
	s_waitcnt lgkmcnt(0)
	buffer_gl0_inv
	ds_load_u8 v6, v27
	s_mov_b32 s6, exec_lo
	s_waitcnt lgkmcnt(0)
	v_and_b32_e32 v8, 1, v6
	v_cmp_ne_u16_e32 vcc_lo, 0, v6
	s_delay_alu instid0(VALU_DEP_2)
	v_cmpx_eq_u32_e32 1, v8
	s_cbranch_execz .LBB6_10
; %bb.32:                               ;   in Loop: Header=BB6_11 Depth=1
	v_and_b32_e32 v6, vcc_lo, v20
	ds_load_b64 v[30:31], v19
	v_bcnt_u32_b32 v6, v6, 0
	s_delay_alu instid0(VALU_DEP_1) | instskip(SKIP_1) | instid1(VALU_DEP_2)
	v_add3_u32 v10, v18, v6, -1
	v_add_nc_u32_e32 v6, v21, v9
	v_lshlrev_b64 v[32:33], 2, v[10:11]
	v_lshlrev_b64 v[8:9], 3, v[10:11]
	s_delay_alu instid0(VALU_DEP_2) | instskip(NEXT) | instid1(VALU_DEP_1)
	v_add_co_u32 v32, s0, s16, v32
	v_add_co_ci_u32_e64 v33, s0, s17, v33, s0
	s_delay_alu instid0(VALU_DEP_3) | instskip(NEXT) | instid1(VALU_DEP_1)
	v_add_co_u32 v8, s0, s18, v8
	v_add_co_ci_u32_e64 v9, s0, s19, v9, s0
	global_store_b32 v[32:33], v6, off
	s_waitcnt lgkmcnt(0)
	global_store_b64 v[8:9], v[30:31], off
	s_branch .LBB6_10
.LBB6_33:
	s_nop 0
	s_sendmsg sendmsg(MSG_DEALLOC_VGPRS)
	s_endpgm
	.section	.rodata,"a",@progbits
	.p2align	6, 0x0
	.amdhsa_kernel _ZN9rocsparseL29csrgeam_fill_multipass_kernelILj256ELj32EiidEEvllNS_24const_host_device_scalarIT3_EEPKT1_PKT2_PKS2_S3_S6_S9_SB_S6_PS7_PS2_21rocsparse_index_base_SE_SE_bbb
		.amdhsa_group_segment_fixed_size 2304
		.amdhsa_private_segment_fixed_size 0
		.amdhsa_kernarg_size 120
		.amdhsa_user_sgpr_count 15
		.amdhsa_user_sgpr_dispatch_ptr 0
		.amdhsa_user_sgpr_queue_ptr 0
		.amdhsa_user_sgpr_kernarg_segment_ptr 1
		.amdhsa_user_sgpr_dispatch_id 0
		.amdhsa_user_sgpr_private_segment_size 0
		.amdhsa_wavefront_size32 1
		.amdhsa_uses_dynamic_stack 0
		.amdhsa_enable_private_segment 0
		.amdhsa_system_sgpr_workgroup_id_x 1
		.amdhsa_system_sgpr_workgroup_id_y 0
		.amdhsa_system_sgpr_workgroup_id_z 0
		.amdhsa_system_sgpr_workgroup_info 0
		.amdhsa_system_vgpr_workitem_id 0
		.amdhsa_next_free_vgpr 34
		.amdhsa_next_free_sgpr 21
		.amdhsa_reserve_vcc 1
		.amdhsa_float_round_mode_32 0
		.amdhsa_float_round_mode_16_64 0
		.amdhsa_float_denorm_mode_32 3
		.amdhsa_float_denorm_mode_16_64 3
		.amdhsa_dx10_clamp 1
		.amdhsa_ieee_mode 1
		.amdhsa_fp16_overflow 0
		.amdhsa_workgroup_processor_mode 1
		.amdhsa_memory_ordered 1
		.amdhsa_forward_progress 0
		.amdhsa_shared_vgpr_count 0
		.amdhsa_exception_fp_ieee_invalid_op 0
		.amdhsa_exception_fp_denorm_src 0
		.amdhsa_exception_fp_ieee_div_zero 0
		.amdhsa_exception_fp_ieee_overflow 0
		.amdhsa_exception_fp_ieee_underflow 0
		.amdhsa_exception_fp_ieee_inexact 0
		.amdhsa_exception_int_div_zero 0
	.end_amdhsa_kernel
	.section	.text._ZN9rocsparseL29csrgeam_fill_multipass_kernelILj256ELj32EiidEEvllNS_24const_host_device_scalarIT3_EEPKT1_PKT2_PKS2_S3_S6_S9_SB_S6_PS7_PS2_21rocsparse_index_base_SE_SE_bbb,"axG",@progbits,_ZN9rocsparseL29csrgeam_fill_multipass_kernelILj256ELj32EiidEEvllNS_24const_host_device_scalarIT3_EEPKT1_PKT2_PKS2_S3_S6_S9_SB_S6_PS7_PS2_21rocsparse_index_base_SE_SE_bbb,comdat
.Lfunc_end6:
	.size	_ZN9rocsparseL29csrgeam_fill_multipass_kernelILj256ELj32EiidEEvllNS_24const_host_device_scalarIT3_EEPKT1_PKT2_PKS2_S3_S6_S9_SB_S6_PS7_PS2_21rocsparse_index_base_SE_SE_bbb, .Lfunc_end6-_ZN9rocsparseL29csrgeam_fill_multipass_kernelILj256ELj32EiidEEvllNS_24const_host_device_scalarIT3_EEPKT1_PKT2_PKS2_S3_S6_S9_SB_S6_PS7_PS2_21rocsparse_index_base_SE_SE_bbb
                                        ; -- End function
	.section	.AMDGPU.csdata,"",@progbits
; Kernel info:
; codeLenInByte = 1716
; NumSgprs: 23
; NumVgprs: 34
; ScratchSize: 0
; MemoryBound: 0
; FloatMode: 240
; IeeeMode: 1
; LDSByteSize: 2304 bytes/workgroup (compile time only)
; SGPRBlocks: 2
; VGPRBlocks: 4
; NumSGPRsForWavesPerEU: 23
; NumVGPRsForWavesPerEU: 34
; Occupancy: 16
; WaveLimiterHint : 1
; COMPUTE_PGM_RSRC2:SCRATCH_EN: 0
; COMPUTE_PGM_RSRC2:USER_SGPR: 15
; COMPUTE_PGM_RSRC2:TRAP_HANDLER: 0
; COMPUTE_PGM_RSRC2:TGID_X_EN: 1
; COMPUTE_PGM_RSRC2:TGID_Y_EN: 0
; COMPUTE_PGM_RSRC2:TGID_Z_EN: 0
; COMPUTE_PGM_RSRC2:TIDIG_COMP_CNT: 0
	.section	.text._ZN9rocsparseL29csrgeam_fill_multipass_kernelILj256ELj64EiidEEvllNS_24const_host_device_scalarIT3_EEPKT1_PKT2_PKS2_S3_S6_S9_SB_S6_PS7_PS2_21rocsparse_index_base_SE_SE_bbb,"axG",@progbits,_ZN9rocsparseL29csrgeam_fill_multipass_kernelILj256ELj64EiidEEvllNS_24const_host_device_scalarIT3_EEPKT1_PKT2_PKS2_S3_S6_S9_SB_S6_PS7_PS2_21rocsparse_index_base_SE_SE_bbb,comdat
	.globl	_ZN9rocsparseL29csrgeam_fill_multipass_kernelILj256ELj64EiidEEvllNS_24const_host_device_scalarIT3_EEPKT1_PKT2_PKS2_S3_S6_S9_SB_S6_PS7_PS2_21rocsparse_index_base_SE_SE_bbb ; -- Begin function _ZN9rocsparseL29csrgeam_fill_multipass_kernelILj256ELj64EiidEEvllNS_24const_host_device_scalarIT3_EEPKT1_PKT2_PKS2_S3_S6_S9_SB_S6_PS7_PS2_21rocsparse_index_base_SE_SE_bbb
	.p2align	8
	.type	_ZN9rocsparseL29csrgeam_fill_multipass_kernelILj256ELj64EiidEEvllNS_24const_host_device_scalarIT3_EEPKT1_PKT2_PKS2_S3_S6_S9_SB_S6_PS7_PS2_21rocsparse_index_base_SE_SE_bbb,@function
_ZN9rocsparseL29csrgeam_fill_multipass_kernelILj256ELj64EiidEEvllNS_24const_host_device_scalarIT3_EEPKT1_PKT2_PKS2_S3_S6_S9_SB_S6_PS7_PS2_21rocsparse_index_base_SE_SE_bbb: ; @_ZN9rocsparseL29csrgeam_fill_multipass_kernelILj256ELj64EiidEEvllNS_24const_host_device_scalarIT3_EEPKT1_PKT2_PKS2_S3_S6_S9_SB_S6_PS7_PS2_21rocsparse_index_base_SE_SE_bbb
; %bb.0:
	s_clause 0x4
	s_load_b128 s[4:7], s[0:1], 0x68
	s_load_b32 s14, s[0:1], 0x74
	s_load_b64 s[12:13], s[0:1], 0x10
	s_load_b64 s[2:3], s[0:1], 0x30
	s_load_b128 s[8:11], s[0:1], 0x0
	s_waitcnt lgkmcnt(0)
	s_and_b32 s16, 1, s7
	s_bitcmp1_b32 s14, 16
	s_cselect_b32 s7, -1, 0
	s_cmp_eq_u32 s16, 1
	s_cselect_b32 s18, -1, 0
	s_delay_alu instid0(SALU_CYCLE_1)
	s_and_b32 s16, s18, exec_lo
	s_cselect_b32 s17, s13, 0
	s_cselect_b32 s16, s12, 0
	s_xor_b32 s18, s18, -1
	v_dual_mov_b32 v1, s16 :: v_dual_mov_b32 v2, s17
	s_or_b32 s18, s18, s7
	s_delay_alu instid0(SALU_CYCLE_1)
	s_and_b32 vcc_lo, exec_lo, s18
	s_cbranch_vccnz .LBB7_2
; %bb.1:
	v_dual_mov_b32 v1, s12 :: v_dual_mov_b32 v2, s13
	flat_load_b64 v[1:2], v[1:2]
.LBB7_2:
	s_bitcmp1_b32 s14, 8
	s_cselect_b32 s14, -1, 0
	s_delay_alu instid0(SALU_CYCLE_1)
	s_and_b32 s12, s14, exec_lo
	s_cselect_b32 s13, s3, 0
	s_cselect_b32 s12, s2, 0
	s_xor_b32 s14, s14, -1
	v_dual_mov_b32 v3, s12 :: v_dual_mov_b32 v4, s13
	s_or_b32 s7, s14, s7
	s_delay_alu instid0(SALU_CYCLE_1)
	s_and_b32 vcc_lo, exec_lo, s7
	s_cbranch_vccnz .LBB7_4
; %bb.3:
	v_dual_mov_b32 v4, s3 :: v_dual_mov_b32 v3, s2
	flat_load_b64 v[3:4], v[3:4]
.LBB7_4:
	v_lshrrev_b32_e32 v5, 6, v0
	s_lshl_b32 s2, s15, 2
	v_mov_b32_e32 v6, 0
	s_delay_alu instid0(VALU_DEP_2) | instskip(SKIP_1) | instid1(VALU_DEP_1)
	v_and_or_b32 v5, 0x3fffffc, s2, v5
	s_mov_b32 s2, exec_lo
	v_cmpx_gt_i64_e64 s[8:9], v[5:6]
	s_cbranch_execz .LBB7_33
; %bb.5:
	s_clause 0x2
	s_load_b128 s[12:15], s[0:1], 0x18
	s_load_b64 s[2:3], s[0:1], 0x38
	s_load_b64 s[8:9], s[0:1], 0x50
	v_lshlrev_b32_e32 v9, 2, v5
	s_waitcnt lgkmcnt(0)
	s_clause 0x2
	global_load_b64 v[7:8], v9, s[12:13]
	global_load_b64 v[5:6], v9, s[2:3]
	global_load_b32 v12, v9, s[8:9]
	s_mov_b32 s2, exec_lo
	s_waitcnt vmcnt(2)
	v_cmpx_ge_i32_e64 v7, v8
	s_xor_b32 s2, exec_lo, s2
	s_delay_alu instid0(SALU_CYCLE_1)
	s_or_saveexec_b32 s2, s2
	v_subrev_nc_u32_e32 v9, s4, v7
	v_mov_b32_e32 v7, s10
	s_xor_b32 exec_lo, exec_lo, s2
	s_cbranch_execz .LBB7_7
; %bb.6:
	s_delay_alu instid0(VALU_DEP_2) | instskip(NEXT) | instid1(VALU_DEP_1)
	v_ashrrev_i32_e32 v10, 31, v9
	v_lshlrev_b64 v[10:11], 2, v[9:10]
	s_delay_alu instid0(VALU_DEP_1) | instskip(NEXT) | instid1(VALU_DEP_2)
	v_add_co_u32 v10, vcc_lo, s14, v10
	v_add_co_ci_u32_e32 v11, vcc_lo, s15, v11, vcc_lo
	global_load_b32 v7, v[10:11], off
	s_waitcnt vmcnt(0)
	v_subrev_nc_u32_e32 v7, s4, v7
.LBB7_7:
	s_or_b32 exec_lo, exec_lo, s2
	s_load_b64 s[2:3], s[0:1], 0x40
	s_mov_b32 s7, exec_lo
	s_waitcnt vmcnt(1)
	v_cmpx_ge_i32_e64 v5, v6
	s_xor_b32 s7, exec_lo, s7
	s_delay_alu instid0(SALU_CYCLE_1)
	s_or_saveexec_b32 s7, s7
	s_clause 0x2
	s_load_b128 s[16:19], s[0:1], 0x58
	s_load_b64 s[8:9], s[0:1], 0x48
	s_load_b64 s[12:13], s[0:1], 0x28
	v_mov_b32_e32 v16, s10
	v_subrev_nc_u32_e32 v10, s5, v5
	v_mov_b32_e32 v5, s10
	s_xor_b32 exec_lo, exec_lo, s7
	s_cbranch_execz .LBB7_9
; %bb.8:
	s_delay_alu instid0(VALU_DEP_2) | instskip(SKIP_1) | instid1(VALU_DEP_2)
	v_ashrrev_i32_e32 v11, 31, v10
	v_mov_b32_e32 v16, s10
	v_lshlrev_b64 v[13:14], 2, v[10:11]
	s_waitcnt lgkmcnt(0)
	s_delay_alu instid0(VALU_DEP_1) | instskip(NEXT) | instid1(VALU_DEP_2)
	v_add_co_u32 v13, vcc_lo, s2, v13
	v_add_co_ci_u32_e32 v14, vcc_lo, s3, v14, vcc_lo
	global_load_b32 v5, v[13:14], off
	s_waitcnt vmcnt(0)
	v_subrev_nc_u32_e32 v5, s5, v5
.LBB7_9:
	s_or_b32 exec_lo, exec_lo, s7
	v_mbcnt_lo_u32_b32 v13, -1, 0
	v_subrev_nc_u32_e32 v19, s5, v6
	v_subrev_nc_u32_e32 v17, s4, v8
	s_waitcnt vmcnt(0)
	v_subrev_nc_u32_e32 v20, s6, v12
	s_mov_b32 s1, 0
	v_or_b32_e32 v6, 32, v13
	v_xor_b32_e32 v15, 1, v13
	v_and_b32_e32 v8, 63, v0
	v_xor_b32_e32 v14, 8, v13
	v_mov_b32_e32 v29, 1
	v_cmp_gt_i32_e32 vcc_lo, 32, v6
	v_dual_cndmask_b32 v6, v13, v6 :: v_dual_and_b32 v11, 0xc0, v0
	s_delay_alu instid0(VALU_DEP_1)
	v_or_b32_e32 v0, 0x800, v11
	v_lshlrev_b32_e32 v18, 3, v11
	v_min_i32_e32 v11, v5, v7
	v_add_nc_u32_e32 v5, v9, v8
	v_xor_b32_e32 v9, 16, v13
	v_lshlrev_b32_e32 v22, 2, v6
	v_xor_b32_e32 v6, 4, v13
	s_delay_alu instid0(VALU_DEP_3)
	v_cmp_gt_i32_e32 vcc_lo, 32, v9
	v_cndmask_b32_e32 v12, v13, v9, vcc_lo
	v_cmp_gt_i32_e32 vcc_lo, 32, v14
	v_cndmask_b32_e32 v14, v13, v14, vcc_lo
	;; [unrolled: 2-line block ×3, first 2 shown]
	s_delay_alu instid0(VALU_DEP_1) | instskip(SKIP_2) | instid1(VALU_DEP_1)
	v_lshlrev_b32_e32 v25, 2, v6
	v_lshlrev_b32_e32 v23, 2, v12
	v_xor_b32_e32 v12, 2, v13
	v_cmp_gt_i32_e32 vcc_lo, 32, v12
	v_cndmask_b32_e32 v12, v13, v12, vcc_lo
	v_cmp_gt_i32_e32 vcc_lo, 32, v15
	s_delay_alu instid0(VALU_DEP_2)
	v_dual_cndmask_b32 v15, v13, v15 :: v_dual_lshlrev_b32 v26, 2, v12
	v_mov_b32_e32 v13, 0
	v_add_nc_u32_e32 v7, v10, v8
	v_xor_b32_e32 v10, 63, v8
	v_lshl_or_b32 v21, v8, 3, v18
	v_lshlrev_b32_e32 v27, 2, v15
	v_lshlrev_b32_e32 v24, 2, v14
	v_mov_b32_e32 v14, v13
	v_lshrrev_b64 v[9:10], v10, -1
	v_dual_mov_b32 v15, v13 :: v_dual_add_nc_u32 v10, s6, v8
	v_add_nc_u32_e32 v28, v0, v8
	s_branch .LBB7_11
.LBB7_10:                               ;   in Loop: Header=BB7_11 Depth=1
	s_or_b32 exec_lo, exec_lo, s6
	ds_bpermute_b32 v6, v22, v30
	s_bcnt1_i32_b32 s6, vcc_lo
	s_delay_alu instid0(SALU_CYCLE_1)
	v_add_nc_u32_e32 v20, s6, v20
	s_waitcnt lgkmcnt(0)
	v_min_i32_e32 v6, v6, v30
	ds_bpermute_b32 v8, v23, v6
	s_waitcnt lgkmcnt(0)
	v_min_i32_e32 v6, v8, v6
	ds_bpermute_b32 v8, v24, v6
	;; [unrolled: 3-line block ×5, first 2 shown]
	s_waitcnt lgkmcnt(0)
	v_min_i32_e32 v11, v8, v6
	s_delay_alu instid0(VALU_DEP_1) | instskip(NEXT) | instid1(VALU_DEP_1)
	v_ashrrev_i32_e32 v12, 31, v11
	v_cmp_le_i64_e64 s0, s[10:11], v[11:12]
	s_delay_alu instid0(VALU_DEP_1) | instskip(NEXT) | instid1(SALU_CYCLE_1)
	s_or_b32 s1, s0, s1
	s_and_not1_b32 exec_lo, exec_lo, s1
	s_cbranch_execz .LBB7_33
.LBB7_11:                               ; =>This Loop Header: Depth=1
                                        ;     Child Loop BB7_14 Depth 2
                                        ;     Child Loop BB7_24 Depth 2
	v_mov_b32_e32 v30, v16
	s_mov_b32 s6, exec_lo
	ds_store_b8 v28, v13
	ds_store_b64 v21, v[14:15]
	s_waitcnt lgkmcnt(0)
	buffer_gl0_inv
	v_cmpx_lt_i32_e64 v5, v17
	s_cbranch_execz .LBB7_21
; %bb.12:                               ;   in Loop: Header=BB7_11 Depth=1
	v_mov_b32_e32 v30, v16
	s_mov_b32 s7, 0
	s_branch .LBB7_14
.LBB7_13:                               ;   in Loop: Header=BB7_14 Depth=2
	s_or_b32 exec_lo, exec_lo, s20
	s_delay_alu instid0(SALU_CYCLE_1) | instskip(NEXT) | instid1(SALU_CYCLE_1)
	s_and_b32 s0, exec_lo, s0
	s_or_b32 s7, s0, s7
	s_delay_alu instid0(SALU_CYCLE_1)
	s_and_not1_b32 exec_lo, exec_lo, s7
	s_cbranch_execz .LBB7_20
.LBB7_14:                               ;   Parent Loop BB7_11 Depth=1
                                        ; =>  This Inner Loop Header: Depth=2
	v_ashrrev_i32_e32 v6, 31, v5
	s_delay_alu instid0(VALU_DEP_1) | instskip(NEXT) | instid1(VALU_DEP_1)
	v_lshlrev_b64 v[31:32], 2, v[5:6]
	v_add_co_u32 v31, vcc_lo, s14, v31
	s_delay_alu instid0(VALU_DEP_2) | instskip(SKIP_3) | instid1(VALU_DEP_1)
	v_add_co_ci_u32_e32 v32, vcc_lo, s15, v32, vcc_lo
	global_load_b32 v8, v[31:32], off
	s_waitcnt vmcnt(0)
	v_subrev_nc_u32_e32 v12, s4, v8
	v_sub_nc_u32_e32 v8, v12, v11
	s_delay_alu instid0(VALU_DEP_1) | instskip(SKIP_1) | instid1(VALU_DEP_1)
	v_cmp_gt_u32_e32 vcc_lo, 64, v8
	v_cmp_lt_u32_e64 s0, 63, v8
	s_and_saveexec_b32 s20, s0
	s_delay_alu instid0(SALU_CYCLE_1)
	s_xor_b32 s0, exec_lo, s20
	s_cbranch_execnz .LBB7_17
; %bb.15:                               ;   in Loop: Header=BB7_14 Depth=2
	s_and_not1_saveexec_b32 s20, s0
	s_cbranch_execnz .LBB7_18
.LBB7_16:                               ;   in Loop: Header=BB7_14 Depth=2
	s_or_b32 exec_lo, exec_lo, s20
	s_mov_b32 s0, -1
	s_and_saveexec_b32 s20, vcc_lo
	s_cbranch_execz .LBB7_13
	s_branch .LBB7_19
.LBB7_17:                               ;   in Loop: Header=BB7_14 Depth=2
	v_min_i32_e32 v30, v12, v30
                                        ; implicit-def: $vgpr8
	s_and_not1_saveexec_b32 s20, s0
	s_cbranch_execz .LBB7_16
.LBB7_18:                               ;   in Loop: Header=BB7_14 Depth=2
	v_lshlrev_b64 v[31:32], 3, v[5:6]
	v_add_nc_u32_e32 v6, v0, v8
	v_lshl_add_u32 v8, v8, 3, v18
	s_delay_alu instid0(VALU_DEP_3) | instskip(NEXT) | instid1(VALU_DEP_1)
	v_add_co_u32 v31, s0, s12, v31
	v_add_co_ci_u32_e64 v32, s0, s13, v32, s0
	global_load_b64 v[31:32], v[31:32], off
	s_waitcnt vmcnt(0)
	v_mul_f64 v[31:32], v[1:2], v[31:32]
	ds_store_b8 v6, v29
	ds_store_b64 v8, v[31:32]
	s_or_b32 exec_lo, exec_lo, s20
	s_mov_b32 s0, -1
	s_and_saveexec_b32 s20, vcc_lo
	s_cbranch_execz .LBB7_13
.LBB7_19:                               ;   in Loop: Header=BB7_14 Depth=2
	v_add_nc_u32_e32 v5, 64, v5
	s_delay_alu instid0(VALU_DEP_1)
	v_cmp_ge_i32_e32 vcc_lo, v5, v17
	s_or_not1_b32 s0, vcc_lo, exec_lo
	s_branch .LBB7_13
.LBB7_20:                               ;   in Loop: Header=BB7_11 Depth=1
	s_or_b32 exec_lo, exec_lo, s7
.LBB7_21:                               ;   in Loop: Header=BB7_11 Depth=1
	s_delay_alu instid0(SALU_CYCLE_1) | instskip(NEXT) | instid1(SALU_CYCLE_1)
	s_or_b32 exec_lo, exec_lo, s6
	s_mov_b32 s6, exec_lo
	s_waitcnt lgkmcnt(0)
	buffer_gl0_inv
	v_cmpx_lt_i32_e64 v7, v19
	s_cbranch_execz .LBB7_31
; %bb.22:                               ;   in Loop: Header=BB7_11 Depth=1
	s_mov_b32 s7, 0
	s_branch .LBB7_24
.LBB7_23:                               ;   in Loop: Header=BB7_24 Depth=2
	s_or_b32 exec_lo, exec_lo, s20
	s_delay_alu instid0(SALU_CYCLE_1) | instskip(NEXT) | instid1(SALU_CYCLE_1)
	s_and_b32 s0, exec_lo, s0
	s_or_b32 s7, s0, s7
	s_delay_alu instid0(SALU_CYCLE_1)
	s_and_not1_b32 exec_lo, exec_lo, s7
	s_cbranch_execz .LBB7_30
.LBB7_24:                               ;   Parent Loop BB7_11 Depth=1
                                        ; =>  This Inner Loop Header: Depth=2
	v_ashrrev_i32_e32 v8, 31, v7
	s_delay_alu instid0(VALU_DEP_1) | instskip(NEXT) | instid1(VALU_DEP_1)
	v_lshlrev_b64 v[31:32], 2, v[7:8]
	v_add_co_u32 v31, vcc_lo, s2, v31
	s_delay_alu instid0(VALU_DEP_2) | instskip(SKIP_3) | instid1(VALU_DEP_1)
	v_add_co_ci_u32_e32 v32, vcc_lo, s3, v32, vcc_lo
	global_load_b32 v6, v[31:32], off
	s_waitcnt vmcnt(0)
	v_subrev_nc_u32_e32 v12, s5, v6
	v_sub_nc_u32_e32 v6, v12, v11
	s_delay_alu instid0(VALU_DEP_1) | instskip(SKIP_1) | instid1(VALU_DEP_1)
	v_cmp_gt_u32_e32 vcc_lo, 64, v6
	v_cmp_lt_u32_e64 s0, 63, v6
	s_and_saveexec_b32 s20, s0
	s_delay_alu instid0(SALU_CYCLE_1)
	s_xor_b32 s0, exec_lo, s20
	s_cbranch_execnz .LBB7_27
; %bb.25:                               ;   in Loop: Header=BB7_24 Depth=2
	s_and_not1_saveexec_b32 s20, s0
	s_cbranch_execnz .LBB7_28
.LBB7_26:                               ;   in Loop: Header=BB7_24 Depth=2
	s_or_b32 exec_lo, exec_lo, s20
	s_mov_b32 s0, -1
	s_and_saveexec_b32 s20, vcc_lo
	s_cbranch_execz .LBB7_23
	s_branch .LBB7_29
.LBB7_27:                               ;   in Loop: Header=BB7_24 Depth=2
	v_min_i32_e32 v30, v12, v30
                                        ; implicit-def: $vgpr6
	s_and_not1_saveexec_b32 s20, s0
	s_cbranch_execz .LBB7_26
.LBB7_28:                               ;   in Loop: Header=BB7_24 Depth=2
	v_lshlrev_b64 v[31:32], 3, v[7:8]
	v_lshl_add_u32 v8, v6, 3, v18
	v_add_nc_u32_e32 v6, v0, v6
	ds_load_b64 v[33:34], v8
	v_add_co_u32 v31, s0, s8, v31
	s_delay_alu instid0(VALU_DEP_1)
	v_add_co_ci_u32_e64 v32, s0, s9, v32, s0
	global_load_b64 v[31:32], v[31:32], off
	s_waitcnt vmcnt(0) lgkmcnt(0)
	v_fma_f64 v[31:32], v[3:4], v[31:32], v[33:34]
	ds_store_b8 v6, v29
	ds_store_b64 v8, v[31:32]
	s_or_b32 exec_lo, exec_lo, s20
	s_mov_b32 s0, -1
	s_and_saveexec_b32 s20, vcc_lo
	s_cbranch_execz .LBB7_23
.LBB7_29:                               ;   in Loop: Header=BB7_24 Depth=2
	v_add_nc_u32_e32 v7, 64, v7
	s_delay_alu instid0(VALU_DEP_1)
	v_cmp_ge_i32_e32 vcc_lo, v7, v19
	s_or_not1_b32 s0, vcc_lo, exec_lo
	s_branch .LBB7_23
.LBB7_30:                               ;   in Loop: Header=BB7_11 Depth=1
	s_or_b32 exec_lo, exec_lo, s7
.LBB7_31:                               ;   in Loop: Header=BB7_11 Depth=1
	s_delay_alu instid0(SALU_CYCLE_1)
	s_or_b32 exec_lo, exec_lo, s6
	s_waitcnt lgkmcnt(0)
	buffer_gl0_inv
	ds_load_u8 v6, v28
	s_mov_b32 s6, exec_lo
	s_waitcnt lgkmcnt(0)
	v_and_b32_e32 v8, 1, v6
	v_cmp_ne_u16_e32 vcc_lo, 0, v6
	s_delay_alu instid0(VALU_DEP_2)
	v_cmpx_eq_u32_e32 1, v8
	s_cbranch_execz .LBB7_10
; %bb.32:                               ;   in Loop: Header=BB7_11 Depth=1
	v_and_b32_e32 v6, vcc_lo, v9
	ds_load_b64 v[31:32], v21
	v_bcnt_u32_b32 v6, v6, 0
	s_delay_alu instid0(VALU_DEP_1) | instskip(SKIP_1) | instid1(VALU_DEP_2)
	v_add3_u32 v12, v20, v6, -1
	v_add_nc_u32_e32 v6, v10, v11
	v_lshlrev_b64 v[33:34], 2, v[12:13]
	v_lshlrev_b64 v[11:12], 3, v[12:13]
	s_delay_alu instid0(VALU_DEP_2) | instskip(NEXT) | instid1(VALU_DEP_1)
	v_add_co_u32 v33, s0, s16, v33
	v_add_co_ci_u32_e64 v34, s0, s17, v34, s0
	s_delay_alu instid0(VALU_DEP_3) | instskip(NEXT) | instid1(VALU_DEP_1)
	v_add_co_u32 v11, s0, s18, v11
	v_add_co_ci_u32_e64 v12, s0, s19, v12, s0
	global_store_b32 v[33:34], v6, off
	s_waitcnt lgkmcnt(0)
	global_store_b64 v[11:12], v[31:32], off
	s_branch .LBB7_10
.LBB7_33:
	s_nop 0
	s_sendmsg sendmsg(MSG_DEALLOC_VGPRS)
	s_endpgm
	.section	.rodata,"a",@progbits
	.p2align	6, 0x0
	.amdhsa_kernel _ZN9rocsparseL29csrgeam_fill_multipass_kernelILj256ELj64EiidEEvllNS_24const_host_device_scalarIT3_EEPKT1_PKT2_PKS2_S3_S6_S9_SB_S6_PS7_PS2_21rocsparse_index_base_SE_SE_bbb
		.amdhsa_group_segment_fixed_size 2304
		.amdhsa_private_segment_fixed_size 0
		.amdhsa_kernarg_size 120
		.amdhsa_user_sgpr_count 15
		.amdhsa_user_sgpr_dispatch_ptr 0
		.amdhsa_user_sgpr_queue_ptr 0
		.amdhsa_user_sgpr_kernarg_segment_ptr 1
		.amdhsa_user_sgpr_dispatch_id 0
		.amdhsa_user_sgpr_private_segment_size 0
		.amdhsa_wavefront_size32 1
		.amdhsa_uses_dynamic_stack 0
		.amdhsa_enable_private_segment 0
		.amdhsa_system_sgpr_workgroup_id_x 1
		.amdhsa_system_sgpr_workgroup_id_y 0
		.amdhsa_system_sgpr_workgroup_id_z 0
		.amdhsa_system_sgpr_workgroup_info 0
		.amdhsa_system_vgpr_workitem_id 0
		.amdhsa_next_free_vgpr 35
		.amdhsa_next_free_sgpr 21
		.amdhsa_reserve_vcc 1
		.amdhsa_float_round_mode_32 0
		.amdhsa_float_round_mode_16_64 0
		.amdhsa_float_denorm_mode_32 3
		.amdhsa_float_denorm_mode_16_64 3
		.amdhsa_dx10_clamp 1
		.amdhsa_ieee_mode 1
		.amdhsa_fp16_overflow 0
		.amdhsa_workgroup_processor_mode 1
		.amdhsa_memory_ordered 1
		.amdhsa_forward_progress 0
		.amdhsa_shared_vgpr_count 0
		.amdhsa_exception_fp_ieee_invalid_op 0
		.amdhsa_exception_fp_denorm_src 0
		.amdhsa_exception_fp_ieee_div_zero 0
		.amdhsa_exception_fp_ieee_overflow 0
		.amdhsa_exception_fp_ieee_underflow 0
		.amdhsa_exception_fp_ieee_inexact 0
		.amdhsa_exception_int_div_zero 0
	.end_amdhsa_kernel
	.section	.text._ZN9rocsparseL29csrgeam_fill_multipass_kernelILj256ELj64EiidEEvllNS_24const_host_device_scalarIT3_EEPKT1_PKT2_PKS2_S3_S6_S9_SB_S6_PS7_PS2_21rocsparse_index_base_SE_SE_bbb,"axG",@progbits,_ZN9rocsparseL29csrgeam_fill_multipass_kernelILj256ELj64EiidEEvllNS_24const_host_device_scalarIT3_EEPKT1_PKT2_PKS2_S3_S6_S9_SB_S6_PS7_PS2_21rocsparse_index_base_SE_SE_bbb,comdat
.Lfunc_end7:
	.size	_ZN9rocsparseL29csrgeam_fill_multipass_kernelILj256ELj64EiidEEvllNS_24const_host_device_scalarIT3_EEPKT1_PKT2_PKS2_S3_S6_S9_SB_S6_PS7_PS2_21rocsparse_index_base_SE_SE_bbb, .Lfunc_end7-_ZN9rocsparseL29csrgeam_fill_multipass_kernelILj256ELj64EiidEEvllNS_24const_host_device_scalarIT3_EEPKT1_PKT2_PKS2_S3_S6_S9_SB_S6_PS7_PS2_21rocsparse_index_base_SE_SE_bbb
                                        ; -- End function
	.section	.AMDGPU.csdata,"",@progbits
; Kernel info:
; codeLenInByte = 1744
; NumSgprs: 23
; NumVgprs: 35
; ScratchSize: 0
; MemoryBound: 0
; FloatMode: 240
; IeeeMode: 1
; LDSByteSize: 2304 bytes/workgroup (compile time only)
; SGPRBlocks: 2
; VGPRBlocks: 4
; NumSGPRsForWavesPerEU: 23
; NumVGPRsForWavesPerEU: 35
; Occupancy: 16
; WaveLimiterHint : 1
; COMPUTE_PGM_RSRC2:SCRATCH_EN: 0
; COMPUTE_PGM_RSRC2:USER_SGPR: 15
; COMPUTE_PGM_RSRC2:TRAP_HANDLER: 0
; COMPUTE_PGM_RSRC2:TGID_X_EN: 1
; COMPUTE_PGM_RSRC2:TGID_Y_EN: 0
; COMPUTE_PGM_RSRC2:TGID_Z_EN: 0
; COMPUTE_PGM_RSRC2:TIDIG_COMP_CNT: 0
	.section	.text._ZN9rocsparseL29csrgeam_fill_multipass_kernelILj256ELj32ElidEEvllNS_24const_host_device_scalarIT3_EEPKT1_PKT2_PKS2_S3_S6_S9_SB_S6_PS7_PS2_21rocsparse_index_base_SE_SE_bbb,"axG",@progbits,_ZN9rocsparseL29csrgeam_fill_multipass_kernelILj256ELj32ElidEEvllNS_24const_host_device_scalarIT3_EEPKT1_PKT2_PKS2_S3_S6_S9_SB_S6_PS7_PS2_21rocsparse_index_base_SE_SE_bbb,comdat
	.globl	_ZN9rocsparseL29csrgeam_fill_multipass_kernelILj256ELj32ElidEEvllNS_24const_host_device_scalarIT3_EEPKT1_PKT2_PKS2_S3_S6_S9_SB_S6_PS7_PS2_21rocsparse_index_base_SE_SE_bbb ; -- Begin function _ZN9rocsparseL29csrgeam_fill_multipass_kernelILj256ELj32ElidEEvllNS_24const_host_device_scalarIT3_EEPKT1_PKT2_PKS2_S3_S6_S9_SB_S6_PS7_PS2_21rocsparse_index_base_SE_SE_bbb
	.p2align	8
	.type	_ZN9rocsparseL29csrgeam_fill_multipass_kernelILj256ELj32ElidEEvllNS_24const_host_device_scalarIT3_EEPKT1_PKT2_PKS2_S3_S6_S9_SB_S6_PS7_PS2_21rocsparse_index_base_SE_SE_bbb,@function
_ZN9rocsparseL29csrgeam_fill_multipass_kernelILj256ELj32ElidEEvllNS_24const_host_device_scalarIT3_EEPKT1_PKT2_PKS2_S3_S6_S9_SB_S6_PS7_PS2_21rocsparse_index_base_SE_SE_bbb: ; @_ZN9rocsparseL29csrgeam_fill_multipass_kernelILj256ELj32ElidEEvllNS_24const_host_device_scalarIT3_EEPKT1_PKT2_PKS2_S3_S6_S9_SB_S6_PS7_PS2_21rocsparse_index_base_SE_SE_bbb
; %bb.0:
	s_clause 0x4
	s_load_b128 s[4:7], s[0:1], 0x68
	s_load_b32 s14, s[0:1], 0x74
	s_load_b64 s[12:13], s[0:1], 0x10
	s_load_b64 s[2:3], s[0:1], 0x30
	s_load_b128 s[8:11], s[0:1], 0x0
	s_waitcnt lgkmcnt(0)
	s_and_b32 s16, 1, s7
	s_bitcmp1_b32 s14, 16
	s_cselect_b32 s7, -1, 0
	s_cmp_eq_u32 s16, 1
	s_cselect_b32 s18, -1, 0
	s_delay_alu instid0(SALU_CYCLE_1)
	s_and_b32 s16, s18, exec_lo
	s_cselect_b32 s17, s13, 0
	s_cselect_b32 s16, s12, 0
	s_xor_b32 s18, s18, -1
	v_dual_mov_b32 v9, s16 :: v_dual_mov_b32 v10, s17
	s_or_b32 s18, s18, s7
	s_delay_alu instid0(SALU_CYCLE_1)
	s_and_b32 vcc_lo, exec_lo, s18
	s_cbranch_vccnz .LBB8_2
; %bb.1:
	v_dual_mov_b32 v1, s12 :: v_dual_mov_b32 v2, s13
	flat_load_b64 v[9:10], v[1:2]
.LBB8_2:
	s_bitcmp1_b32 s14, 8
	s_cselect_b32 s14, -1, 0
	s_delay_alu instid0(SALU_CYCLE_1)
	s_and_b32 s12, s14, exec_lo
	s_cselect_b32 s13, s3, 0
	s_cselect_b32 s12, s2, 0
	s_xor_b32 s14, s14, -1
	v_dual_mov_b32 v11, s12 :: v_dual_mov_b32 v12, s13
	s_or_b32 s7, s14, s7
	s_delay_alu instid0(SALU_CYCLE_1)
	s_and_b32 vcc_lo, exec_lo, s7
	s_cbranch_vccnz .LBB8_4
; %bb.3:
	v_dual_mov_b32 v1, s2 :: v_dual_mov_b32 v2, s3
	flat_load_b64 v[11:12], v[1:2]
.LBB8_4:
	v_lshrrev_b32_e32 v1, 5, v0
	s_lshl_b32 s2, s15, 3
	v_mov_b32_e32 v2, 0
	s_delay_alu instid0(VALU_DEP_2) | instskip(SKIP_1) | instid1(VALU_DEP_1)
	v_and_or_b32 v1, 0x7fffff8, s2, v1
	s_mov_b32 s2, exec_lo
	v_cmpx_gt_i64_e64 s[8:9], v[1:2]
	s_cbranch_execz .LBB8_33
; %bb.5:
	s_clause 0x2
	s_load_b128 s[12:15], s[0:1], 0x18
	s_load_b64 s[2:3], s[0:1], 0x38
	s_load_b64 s[8:9], s[0:1], 0x50
	v_lshlrev_b32_e32 v13, 3, v1
	s_waitcnt lgkmcnt(0)
	s_clause 0x2
	global_load_b128 v[1:4], v13, s[12:13]
	global_load_b128 v[5:8], v13, s[2:3]
	global_load_b64 v[15:16], v13, s[8:9]
	s_waitcnt vmcnt(2)
	v_sub_co_u32 v13, s2, v1, s4
	s_delay_alu instid0(VALU_DEP_1) | instskip(SKIP_3) | instid1(SALU_CYCLE_1)
	v_subrev_co_ci_u32_e64 v14, s2, 0, v2, s2
	s_mov_b32 s2, exec_lo
	v_cmpx_ge_i64_e64 v[1:2], v[3:4]
	s_xor_b32 s2, exec_lo, s2
	s_or_saveexec_b32 s2, s2
	v_mov_b32_e32 v19, s10
	s_xor_b32 exec_lo, exec_lo, s2
	s_cbranch_execz .LBB8_7
; %bb.6:
	v_lshlrev_b64 v[1:2], 2, v[13:14]
	s_delay_alu instid0(VALU_DEP_1) | instskip(NEXT) | instid1(VALU_DEP_2)
	v_add_co_u32 v1, vcc_lo, s14, v1
	v_add_co_ci_u32_e32 v2, vcc_lo, s15, v2, vcc_lo
	global_load_b32 v1, v[1:2], off
	s_waitcnt vmcnt(0)
	v_subrev_nc_u32_e32 v19, s4, v1
.LBB8_7:
	s_or_b32 exec_lo, exec_lo, s2
	s_clause 0x1
	s_load_b128 s[16:19], s[0:1], 0x58
	s_load_b64 s[8:9], s[0:1], 0x40
	s_waitcnt vmcnt(1)
	v_sub_co_u32 v17, s2, v5, s5
	s_delay_alu instid0(VALU_DEP_1) | instskip(SKIP_4) | instid1(SALU_CYCLE_1)
	v_subrev_co_ci_u32_e64 v18, s2, 0, v6, s2
	s_mov_b32 s7, s5
	s_mov_b32 s2, exec_lo
	v_cmpx_ge_i64_e64 v[5:6], v[7:8]
	s_xor_b32 s2, exec_lo, s2
	s_or_saveexec_b32 s20, s2
	s_clause 0x1
	s_load_b64 s[2:3], s[0:1], 0x48
	s_load_b64 s[12:13], s[0:1], 0x28
	v_dual_mov_b32 v20, s10 :: v_dual_mov_b32 v5, s10
	s_xor_b32 exec_lo, exec_lo, s20
	s_cbranch_execz .LBB8_9
; %bb.8:
	v_lshlrev_b64 v[1:2], 2, v[17:18]
	v_mov_b32_e32 v20, s10
	s_waitcnt lgkmcnt(0)
	s_delay_alu instid0(VALU_DEP_2) | instskip(NEXT) | instid1(VALU_DEP_3)
	v_add_co_u32 v1, vcc_lo, s8, v1
	v_add_co_ci_u32_e32 v2, vcc_lo, s9, v2, vcc_lo
	global_load_b32 v1, v[1:2], off
	s_waitcnt vmcnt(0)
	v_subrev_nc_u32_e32 v5, s5, v1
.LBB8_9:
	s_or_b32 exec_lo, exec_lo, s20
	v_and_b32_e32 v1, 0xe0, v0
	v_and_b32_e32 v6, 31, v0
	s_mov_b32 s1, 0
	v_mov_b32_e32 v33, 1
	s_delay_alu instid0(VALU_DEP_3)
	v_or_b32_e32 v21, 0x800, v1
	v_lshlrev_b32_e32 v22, 3, v1
	v_sub_co_u32 v1, vcc_lo, v3, s4
	v_subrev_co_ci_u32_e32 v2, vcc_lo, 0, v4, vcc_lo
	v_sub_co_u32 v3, vcc_lo, v7, s7
	v_subrev_co_ci_u32_e32 v4, vcc_lo, 0, v8, vcc_lo
	s_waitcnt vmcnt(0)
	v_sub_co_u32 v0, vcc_lo, v15, s6
	v_subrev_co_ci_u32_e32 v23, vcc_lo, 0, v16, vcc_lo
	v_mbcnt_lo_u32_b32 v16, -1, 0
	v_add_co_u32 v7, vcc_lo, v13, v6
	v_add_co_ci_u32_e32 v8, vcc_lo, 0, v14, vcc_lo
	v_add_co_u32 v13, vcc_lo, v17, v6
	s_delay_alu instid0(VALU_DEP_4) | instskip(SKIP_3) | instid1(VALU_DEP_4)
	v_xor_b32_e32 v17, 16, v16
	v_add_co_ci_u32_e32 v14, vcc_lo, 0, v18, vcc_lo
	v_min_i32_e32 v15, v5, v19
	v_mov_b32_e32 v5, 0
	v_cmp_gt_i32_e32 vcc_lo, 32, v17
	v_xor_b32_e32 v18, 8, v16
	v_xor_b32_e32 v27, 2, v16
	;; [unrolled: 1-line block ×3, first 2 shown]
	v_cndmask_b32_e32 v17, v16, v17, vcc_lo
	v_xor_b32_e32 v19, 31, v6
	v_cmp_gt_i32_e32 vcc_lo, 32, v18
	v_lshl_or_b32 v24, v6, 3, v22
	v_add_nc_u32_e32 v32, v21, v6
	s_delay_alu instid0(VALU_DEP_4) | instskip(SKIP_2) | instid1(VALU_DEP_2)
	v_lshrrev_b32_e64 v25, v19, -1
	v_xor_b32_e32 v19, 4, v16
	v_cndmask_b32_e32 v18, v16, v18, vcc_lo
	v_cmp_gt_i32_e32 vcc_lo, 32, v19
	v_add_nc_u32_e32 v26, s6, v6
	s_waitcnt lgkmcnt(0)
	s_add_u32 s6, s16, -4
	s_addc_u32 s7, s17, -1
	s_add_u32 s16, s18, -8
	v_cndmask_b32_e32 v19, v16, v19, vcc_lo
	v_cmp_gt_i32_e32 vcc_lo, 32, v27
	s_addc_u32 s17, s19, -1
	s_delay_alu instid0(VALU_DEP_2) | instskip(SKIP_2) | instid1(VALU_DEP_2)
	v_dual_mov_b32 v6, v5 :: v_dual_lshlrev_b32 v29, 2, v19
	v_dual_cndmask_b32 v30, v16, v27 :: v_dual_lshlrev_b32 v27, 2, v17
	v_cmp_gt_i32_e32 vcc_lo, 32, v28
	v_lshlrev_b32_e32 v30, 2, v30
	v_cndmask_b32_e32 v16, v16, v28, vcc_lo
	v_lshlrev_b32_e32 v28, 2, v18
	s_delay_alu instid0(VALU_DEP_2)
	v_lshlrev_b32_e32 v31, 2, v16
	s_branch .LBB8_11
.LBB8_10:                               ;   in Loop: Header=BB8_11 Depth=1
	s_or_b32 exec_lo, exec_lo, s18
	ds_bpermute_b32 v15, v27, v34
	s_bcnt1_i32_b32 s0, vcc_lo
	s_delay_alu instid0(SALU_CYCLE_1) | instskip(NEXT) | instid1(VALU_DEP_1)
	v_add_co_u32 v0, s0, v0, s0
	v_add_co_ci_u32_e64 v23, s0, 0, v23, s0
	s_waitcnt lgkmcnt(0)
	v_min_i32_e32 v15, v15, v34
	ds_bpermute_b32 v16, v28, v15
	s_waitcnt lgkmcnt(0)
	v_min_i32_e32 v15, v16, v15
	ds_bpermute_b32 v16, v29, v15
	;; [unrolled: 3-line block ×4, first 2 shown]
	s_waitcnt lgkmcnt(0)
	v_min_i32_e32 v15, v16, v15
	s_delay_alu instid0(VALU_DEP_1) | instskip(NEXT) | instid1(VALU_DEP_1)
	v_ashrrev_i32_e32 v16, 31, v15
	v_cmp_le_i64_e32 vcc_lo, s[10:11], v[15:16]
	s_or_b32 s1, vcc_lo, s1
	s_delay_alu instid0(SALU_CYCLE_1)
	s_and_not1_b32 exec_lo, exec_lo, s1
	s_cbranch_execz .LBB8_33
.LBB8_11:                               ; =>This Loop Header: Depth=1
                                        ;     Child Loop BB8_14 Depth 2
                                        ;     Child Loop BB8_24 Depth 2
	v_mov_b32_e32 v34, v20
	s_mov_b32 s18, exec_lo
	ds_store_b8 v32, v5
	ds_store_b64 v24, v[5:6]
	s_waitcnt lgkmcnt(0)
	buffer_gl0_inv
	v_cmpx_lt_i64_e64 v[7:8], v[1:2]
	s_cbranch_execz .LBB8_21
; %bb.12:                               ;   in Loop: Header=BB8_11 Depth=1
	v_lshlrev_b64 v[16:17], 2, v[7:8]
	v_lshlrev_b64 v[18:19], 3, v[7:8]
	v_mov_b32_e32 v34, v20
	s_mov_b32 s19, 0
	s_delay_alu instid0(VALU_DEP_3) | instskip(NEXT) | instid1(VALU_DEP_4)
	v_add_co_u32 v16, vcc_lo, s14, v16
	v_add_co_ci_u32_e32 v17, vcc_lo, s15, v17, vcc_lo
	s_delay_alu instid0(VALU_DEP_4)
	v_add_co_u32 v18, vcc_lo, s12, v18
	v_add_co_ci_u32_e32 v19, vcc_lo, s13, v19, vcc_lo
	s_branch .LBB8_14
.LBB8_13:                               ;   in Loop: Header=BB8_14 Depth=2
	s_or_b32 exec_lo, exec_lo, s20
	s_delay_alu instid0(SALU_CYCLE_1) | instskip(NEXT) | instid1(SALU_CYCLE_1)
	s_and_b32 s0, exec_lo, s0
	s_or_b32 s19, s0, s19
	s_delay_alu instid0(SALU_CYCLE_1)
	s_and_not1_b32 exec_lo, exec_lo, s19
	s_cbranch_execz .LBB8_20
.LBB8_14:                               ;   Parent Loop BB8_11 Depth=1
                                        ; =>  This Inner Loop Header: Depth=2
	global_load_b32 v35, v[16:17], off
	s_waitcnt vmcnt(0)
	v_subrev_nc_u32_e32 v36, s4, v35
	s_delay_alu instid0(VALU_DEP_1) | instskip(NEXT) | instid1(VALU_DEP_1)
	v_sub_nc_u32_e32 v35, v36, v15
	v_cmp_gt_u32_e32 vcc_lo, 32, v35
	v_cmp_lt_u32_e64 s0, 31, v35
	s_delay_alu instid0(VALU_DEP_1) | instskip(NEXT) | instid1(SALU_CYCLE_1)
	s_and_saveexec_b32 s20, s0
	s_xor_b32 s0, exec_lo, s20
	s_cbranch_execnz .LBB8_17
; %bb.15:                               ;   in Loop: Header=BB8_14 Depth=2
	s_and_not1_saveexec_b32 s0, s0
	s_cbranch_execnz .LBB8_18
.LBB8_16:                               ;   in Loop: Header=BB8_14 Depth=2
	s_or_b32 exec_lo, exec_lo, s0
	s_mov_b32 s0, -1
	s_and_saveexec_b32 s20, vcc_lo
	s_cbranch_execz .LBB8_13
	s_branch .LBB8_19
.LBB8_17:                               ;   in Loop: Header=BB8_14 Depth=2
	v_min_i32_e32 v34, v36, v34
                                        ; implicit-def: $vgpr35
	s_and_not1_saveexec_b32 s0, s0
	s_cbranch_execz .LBB8_16
.LBB8_18:                               ;   in Loop: Header=BB8_14 Depth=2
	global_load_b64 v[36:37], v[18:19], off
	v_add_nc_u32_e32 v38, v21, v35
	v_lshl_add_u32 v35, v35, 3, v22
	s_waitcnt vmcnt(0)
	v_mul_f64 v[36:37], v[9:10], v[36:37]
	ds_store_b8 v38, v33
	ds_store_b64 v35, v[36:37]
	s_or_b32 exec_lo, exec_lo, s0
	s_mov_b32 s0, -1
	s_and_saveexec_b32 s20, vcc_lo
	s_cbranch_execz .LBB8_13
.LBB8_19:                               ;   in Loop: Header=BB8_14 Depth=2
	v_add_co_u32 v7, vcc_lo, v7, 32
	v_add_co_ci_u32_e32 v8, vcc_lo, 0, v8, vcc_lo
	v_add_co_u32 v16, vcc_lo, 0x80, v16
	v_add_co_ci_u32_e32 v17, vcc_lo, 0, v17, vcc_lo
	s_delay_alu instid0(VALU_DEP_3) | instskip(SKIP_1) | instid1(VALU_DEP_1)
	v_cmp_ge_i64_e32 vcc_lo, v[7:8], v[1:2]
	v_add_co_u32 v18, s0, 0x100, v18
	v_add_co_ci_u32_e64 v19, s0, 0, v19, s0
	s_or_not1_b32 s0, vcc_lo, exec_lo
	s_branch .LBB8_13
.LBB8_20:                               ;   in Loop: Header=BB8_11 Depth=1
	s_or_b32 exec_lo, exec_lo, s19
.LBB8_21:                               ;   in Loop: Header=BB8_11 Depth=1
	s_delay_alu instid0(SALU_CYCLE_1) | instskip(NEXT) | instid1(SALU_CYCLE_1)
	s_or_b32 exec_lo, exec_lo, s18
	s_mov_b32 s18, exec_lo
	s_waitcnt lgkmcnt(0)
	buffer_gl0_inv
	v_cmpx_lt_i64_e64 v[13:14], v[3:4]
	s_cbranch_execz .LBB8_31
; %bb.22:                               ;   in Loop: Header=BB8_11 Depth=1
	v_lshlrev_b64 v[16:17], 2, v[13:14]
	v_lshlrev_b64 v[18:19], 3, v[13:14]
	s_mov_b32 s19, 0
	s_delay_alu instid0(VALU_DEP_2) | instskip(NEXT) | instid1(VALU_DEP_3)
	v_add_co_u32 v16, vcc_lo, s8, v16
	v_add_co_ci_u32_e32 v17, vcc_lo, s9, v17, vcc_lo
	s_delay_alu instid0(VALU_DEP_3) | instskip(NEXT) | instid1(VALU_DEP_4)
	v_add_co_u32 v18, vcc_lo, s2, v18
	v_add_co_ci_u32_e32 v19, vcc_lo, s3, v19, vcc_lo
	s_branch .LBB8_24
.LBB8_23:                               ;   in Loop: Header=BB8_24 Depth=2
	s_or_b32 exec_lo, exec_lo, s20
	s_delay_alu instid0(SALU_CYCLE_1) | instskip(NEXT) | instid1(SALU_CYCLE_1)
	s_and_b32 s0, exec_lo, s0
	s_or_b32 s19, s0, s19
	s_delay_alu instid0(SALU_CYCLE_1)
	s_and_not1_b32 exec_lo, exec_lo, s19
	s_cbranch_execz .LBB8_30
.LBB8_24:                               ;   Parent Loop BB8_11 Depth=1
                                        ; =>  This Inner Loop Header: Depth=2
	global_load_b32 v35, v[16:17], off
	s_waitcnt vmcnt(0)
	v_subrev_nc_u32_e32 v36, s5, v35
	s_delay_alu instid0(VALU_DEP_1) | instskip(NEXT) | instid1(VALU_DEP_1)
	v_sub_nc_u32_e32 v35, v36, v15
	v_cmp_gt_u32_e32 vcc_lo, 32, v35
	v_cmp_lt_u32_e64 s0, 31, v35
	s_delay_alu instid0(VALU_DEP_1) | instskip(NEXT) | instid1(SALU_CYCLE_1)
	s_and_saveexec_b32 s20, s0
	s_xor_b32 s0, exec_lo, s20
	s_cbranch_execnz .LBB8_27
; %bb.25:                               ;   in Loop: Header=BB8_24 Depth=2
	s_and_not1_saveexec_b32 s0, s0
	s_cbranch_execnz .LBB8_28
.LBB8_26:                               ;   in Loop: Header=BB8_24 Depth=2
	s_or_b32 exec_lo, exec_lo, s0
	s_mov_b32 s0, -1
	s_and_saveexec_b32 s20, vcc_lo
	s_cbranch_execz .LBB8_23
	s_branch .LBB8_29
.LBB8_27:                               ;   in Loop: Header=BB8_24 Depth=2
	v_min_i32_e32 v34, v36, v34
                                        ; implicit-def: $vgpr35
	s_and_not1_saveexec_b32 s0, s0
	s_cbranch_execz .LBB8_26
.LBB8_28:                               ;   in Loop: Header=BB8_24 Depth=2
	global_load_b64 v[36:37], v[18:19], off
	v_lshl_add_u32 v40, v35, 3, v22
	v_add_nc_u32_e32 v35, v21, v35
	ds_load_b64 v[38:39], v40
	s_waitcnt vmcnt(0) lgkmcnt(0)
	v_fma_f64 v[36:37], v[11:12], v[36:37], v[38:39]
	ds_store_b8 v35, v33
	ds_store_b64 v40, v[36:37]
	s_or_b32 exec_lo, exec_lo, s0
	s_mov_b32 s0, -1
	s_and_saveexec_b32 s20, vcc_lo
	s_cbranch_execz .LBB8_23
.LBB8_29:                               ;   in Loop: Header=BB8_24 Depth=2
	v_add_co_u32 v13, vcc_lo, v13, 32
	v_add_co_ci_u32_e32 v14, vcc_lo, 0, v14, vcc_lo
	v_add_co_u32 v16, vcc_lo, 0x80, v16
	v_add_co_ci_u32_e32 v17, vcc_lo, 0, v17, vcc_lo
	s_delay_alu instid0(VALU_DEP_3) | instskip(SKIP_1) | instid1(VALU_DEP_1)
	v_cmp_ge_i64_e32 vcc_lo, v[13:14], v[3:4]
	v_add_co_u32 v18, s0, 0x100, v18
	v_add_co_ci_u32_e64 v19, s0, 0, v19, s0
	s_or_not1_b32 s0, vcc_lo, exec_lo
	s_branch .LBB8_23
.LBB8_30:                               ;   in Loop: Header=BB8_11 Depth=1
	s_or_b32 exec_lo, exec_lo, s19
.LBB8_31:                               ;   in Loop: Header=BB8_11 Depth=1
	s_delay_alu instid0(SALU_CYCLE_1)
	s_or_b32 exec_lo, exec_lo, s18
	s_waitcnt lgkmcnt(0)
	buffer_gl0_inv
	ds_load_u8 v16, v32
	s_mov_b32 s18, exec_lo
	s_waitcnt lgkmcnt(0)
	v_and_b32_e32 v17, 1, v16
	v_cmp_ne_u16_e32 vcc_lo, 0, v16
	s_delay_alu instid0(VALU_DEP_2)
	v_cmpx_eq_u32_e32 1, v17
	s_cbranch_execz .LBB8_10
; %bb.32:                               ;   in Loop: Header=BB8_11 Depth=1
	v_and_b32_e32 v16, vcc_lo, v25
	ds_load_b64 v[18:19], v24
	v_add_nc_u32_e32 v37, v26, v15
	v_bcnt_u32_b32 v16, v16, 0
	s_delay_alu instid0(VALU_DEP_1) | instskip(NEXT) | instid1(VALU_DEP_1)
	v_add_co_u32 v16, s0, v0, v16
	v_add_co_ci_u32_e64 v17, s0, 0, v23, s0
	s_delay_alu instid0(VALU_DEP_1) | instskip(SKIP_1) | instid1(VALU_DEP_2)
	v_lshlrev_b64 v[35:36], 2, v[16:17]
	v_lshlrev_b64 v[15:16], 3, v[16:17]
	v_add_co_u32 v35, s0, s6, v35
	s_delay_alu instid0(VALU_DEP_1) | instskip(NEXT) | instid1(VALU_DEP_3)
	v_add_co_ci_u32_e64 v36, s0, s7, v36, s0
	v_add_co_u32 v15, s0, s16, v15
	s_delay_alu instid0(VALU_DEP_1)
	v_add_co_ci_u32_e64 v16, s0, s17, v16, s0
	global_store_b32 v[35:36], v37, off
	s_waitcnt lgkmcnt(0)
	global_store_b64 v[15:16], v[18:19], off
	s_branch .LBB8_10
.LBB8_33:
	s_nop 0
	s_sendmsg sendmsg(MSG_DEALLOC_VGPRS)
	s_endpgm
	.section	.rodata,"a",@progbits
	.p2align	6, 0x0
	.amdhsa_kernel _ZN9rocsparseL29csrgeam_fill_multipass_kernelILj256ELj32ElidEEvllNS_24const_host_device_scalarIT3_EEPKT1_PKT2_PKS2_S3_S6_S9_SB_S6_PS7_PS2_21rocsparse_index_base_SE_SE_bbb
		.amdhsa_group_segment_fixed_size 2304
		.amdhsa_private_segment_fixed_size 0
		.amdhsa_kernarg_size 120
		.amdhsa_user_sgpr_count 15
		.amdhsa_user_sgpr_dispatch_ptr 0
		.amdhsa_user_sgpr_queue_ptr 0
		.amdhsa_user_sgpr_kernarg_segment_ptr 1
		.amdhsa_user_sgpr_dispatch_id 0
		.amdhsa_user_sgpr_private_segment_size 0
		.amdhsa_wavefront_size32 1
		.amdhsa_uses_dynamic_stack 0
		.amdhsa_enable_private_segment 0
		.amdhsa_system_sgpr_workgroup_id_x 1
		.amdhsa_system_sgpr_workgroup_id_y 0
		.amdhsa_system_sgpr_workgroup_id_z 0
		.amdhsa_system_sgpr_workgroup_info 0
		.amdhsa_system_vgpr_workitem_id 0
		.amdhsa_next_free_vgpr 41
		.amdhsa_next_free_sgpr 21
		.amdhsa_reserve_vcc 1
		.amdhsa_float_round_mode_32 0
		.amdhsa_float_round_mode_16_64 0
		.amdhsa_float_denorm_mode_32 3
		.amdhsa_float_denorm_mode_16_64 3
		.amdhsa_dx10_clamp 1
		.amdhsa_ieee_mode 1
		.amdhsa_fp16_overflow 0
		.amdhsa_workgroup_processor_mode 1
		.amdhsa_memory_ordered 1
		.amdhsa_forward_progress 0
		.amdhsa_shared_vgpr_count 0
		.amdhsa_exception_fp_ieee_invalid_op 0
		.amdhsa_exception_fp_denorm_src 0
		.amdhsa_exception_fp_ieee_div_zero 0
		.amdhsa_exception_fp_ieee_overflow 0
		.amdhsa_exception_fp_ieee_underflow 0
		.amdhsa_exception_fp_ieee_inexact 0
		.amdhsa_exception_int_div_zero 0
	.end_amdhsa_kernel
	.section	.text._ZN9rocsparseL29csrgeam_fill_multipass_kernelILj256ELj32ElidEEvllNS_24const_host_device_scalarIT3_EEPKT1_PKT2_PKS2_S3_S6_S9_SB_S6_PS7_PS2_21rocsparse_index_base_SE_SE_bbb,"axG",@progbits,_ZN9rocsparseL29csrgeam_fill_multipass_kernelILj256ELj32ElidEEvllNS_24const_host_device_scalarIT3_EEPKT1_PKT2_PKS2_S3_S6_S9_SB_S6_PS7_PS2_21rocsparse_index_base_SE_SE_bbb,comdat
.Lfunc_end8:
	.size	_ZN9rocsparseL29csrgeam_fill_multipass_kernelILj256ELj32ElidEEvllNS_24const_host_device_scalarIT3_EEPKT1_PKT2_PKS2_S3_S6_S9_SB_S6_PS7_PS2_21rocsparse_index_base_SE_SE_bbb, .Lfunc_end8-_ZN9rocsparseL29csrgeam_fill_multipass_kernelILj256ELj32ElidEEvllNS_24const_host_device_scalarIT3_EEPKT1_PKT2_PKS2_S3_S6_S9_SB_S6_PS7_PS2_21rocsparse_index_base_SE_SE_bbb
                                        ; -- End function
	.section	.AMDGPU.csdata,"",@progbits
; Kernel info:
; codeLenInByte = 1872
; NumSgprs: 23
; NumVgprs: 41
; ScratchSize: 0
; MemoryBound: 0
; FloatMode: 240
; IeeeMode: 1
; LDSByteSize: 2304 bytes/workgroup (compile time only)
; SGPRBlocks: 2
; VGPRBlocks: 5
; NumSGPRsForWavesPerEU: 23
; NumVGPRsForWavesPerEU: 41
; Occupancy: 16
; WaveLimiterHint : 1
; COMPUTE_PGM_RSRC2:SCRATCH_EN: 0
; COMPUTE_PGM_RSRC2:USER_SGPR: 15
; COMPUTE_PGM_RSRC2:TRAP_HANDLER: 0
; COMPUTE_PGM_RSRC2:TGID_X_EN: 1
; COMPUTE_PGM_RSRC2:TGID_Y_EN: 0
; COMPUTE_PGM_RSRC2:TGID_Z_EN: 0
; COMPUTE_PGM_RSRC2:TIDIG_COMP_CNT: 0
	.section	.text._ZN9rocsparseL29csrgeam_fill_multipass_kernelILj256ELj64ElidEEvllNS_24const_host_device_scalarIT3_EEPKT1_PKT2_PKS2_S3_S6_S9_SB_S6_PS7_PS2_21rocsparse_index_base_SE_SE_bbb,"axG",@progbits,_ZN9rocsparseL29csrgeam_fill_multipass_kernelILj256ELj64ElidEEvllNS_24const_host_device_scalarIT3_EEPKT1_PKT2_PKS2_S3_S6_S9_SB_S6_PS7_PS2_21rocsparse_index_base_SE_SE_bbb,comdat
	.globl	_ZN9rocsparseL29csrgeam_fill_multipass_kernelILj256ELj64ElidEEvllNS_24const_host_device_scalarIT3_EEPKT1_PKT2_PKS2_S3_S6_S9_SB_S6_PS7_PS2_21rocsparse_index_base_SE_SE_bbb ; -- Begin function _ZN9rocsparseL29csrgeam_fill_multipass_kernelILj256ELj64ElidEEvllNS_24const_host_device_scalarIT3_EEPKT1_PKT2_PKS2_S3_S6_S9_SB_S6_PS7_PS2_21rocsparse_index_base_SE_SE_bbb
	.p2align	8
	.type	_ZN9rocsparseL29csrgeam_fill_multipass_kernelILj256ELj64ElidEEvllNS_24const_host_device_scalarIT3_EEPKT1_PKT2_PKS2_S3_S6_S9_SB_S6_PS7_PS2_21rocsparse_index_base_SE_SE_bbb,@function
_ZN9rocsparseL29csrgeam_fill_multipass_kernelILj256ELj64ElidEEvllNS_24const_host_device_scalarIT3_EEPKT1_PKT2_PKS2_S3_S6_S9_SB_S6_PS7_PS2_21rocsparse_index_base_SE_SE_bbb: ; @_ZN9rocsparseL29csrgeam_fill_multipass_kernelILj256ELj64ElidEEvllNS_24const_host_device_scalarIT3_EEPKT1_PKT2_PKS2_S3_S6_S9_SB_S6_PS7_PS2_21rocsparse_index_base_SE_SE_bbb
; %bb.0:
	s_clause 0x4
	s_load_b128 s[4:7], s[0:1], 0x68
	s_load_b32 s14, s[0:1], 0x74
	s_load_b64 s[12:13], s[0:1], 0x10
	s_load_b64 s[2:3], s[0:1], 0x30
	s_load_b128 s[8:11], s[0:1], 0x0
	s_waitcnt lgkmcnt(0)
	s_and_b32 s16, 1, s7
	s_bitcmp1_b32 s14, 16
	s_cselect_b32 s7, -1, 0
	s_cmp_eq_u32 s16, 1
	s_cselect_b32 s18, -1, 0
	s_delay_alu instid0(SALU_CYCLE_1)
	s_and_b32 s16, s18, exec_lo
	s_cselect_b32 s17, s13, 0
	s_cselect_b32 s16, s12, 0
	s_xor_b32 s18, s18, -1
	v_dual_mov_b32 v9, s16 :: v_dual_mov_b32 v10, s17
	s_or_b32 s18, s18, s7
	s_delay_alu instid0(SALU_CYCLE_1)
	s_and_b32 vcc_lo, exec_lo, s18
	s_cbranch_vccnz .LBB9_2
; %bb.1:
	v_dual_mov_b32 v1, s12 :: v_dual_mov_b32 v2, s13
	flat_load_b64 v[9:10], v[1:2]
.LBB9_2:
	s_bitcmp1_b32 s14, 8
	s_cselect_b32 s14, -1, 0
	s_delay_alu instid0(SALU_CYCLE_1)
	s_and_b32 s12, s14, exec_lo
	s_cselect_b32 s13, s3, 0
	s_cselect_b32 s12, s2, 0
	s_xor_b32 s14, s14, -1
	v_dual_mov_b32 v11, s12 :: v_dual_mov_b32 v12, s13
	s_or_b32 s7, s14, s7
	s_delay_alu instid0(SALU_CYCLE_1)
	s_and_b32 vcc_lo, exec_lo, s7
	s_cbranch_vccnz .LBB9_4
; %bb.3:
	v_dual_mov_b32 v1, s2 :: v_dual_mov_b32 v2, s3
	flat_load_b64 v[11:12], v[1:2]
.LBB9_4:
	v_lshrrev_b32_e32 v1, 6, v0
	s_lshl_b32 s2, s15, 2
	v_mov_b32_e32 v2, 0
	s_delay_alu instid0(VALU_DEP_2) | instskip(SKIP_1) | instid1(VALU_DEP_1)
	v_and_or_b32 v1, 0x3fffffc, s2, v1
	s_mov_b32 s2, exec_lo
	v_cmpx_gt_i64_e64 s[8:9], v[1:2]
	s_cbranch_execz .LBB9_33
; %bb.5:
	s_clause 0x2
	s_load_b128 s[12:15], s[0:1], 0x18
	s_load_b64 s[2:3], s[0:1], 0x38
	s_load_b64 s[8:9], s[0:1], 0x50
	v_lshlrev_b32_e32 v13, 3, v1
	s_waitcnt lgkmcnt(0)
	s_clause 0x2
	global_load_b128 v[1:4], v13, s[12:13]
	global_load_b128 v[5:8], v13, s[2:3]
	global_load_b64 v[15:16], v13, s[8:9]
	s_waitcnt vmcnt(2)
	v_sub_co_u32 v13, s2, v1, s4
	s_delay_alu instid0(VALU_DEP_1) | instskip(SKIP_3) | instid1(SALU_CYCLE_1)
	v_subrev_co_ci_u32_e64 v14, s2, 0, v2, s2
	s_mov_b32 s2, exec_lo
	v_cmpx_ge_i64_e64 v[1:2], v[3:4]
	s_xor_b32 s2, exec_lo, s2
	s_or_saveexec_b32 s2, s2
	v_mov_b32_e32 v19, s10
	s_xor_b32 exec_lo, exec_lo, s2
	s_cbranch_execz .LBB9_7
; %bb.6:
	v_lshlrev_b64 v[1:2], 2, v[13:14]
	s_delay_alu instid0(VALU_DEP_1) | instskip(NEXT) | instid1(VALU_DEP_2)
	v_add_co_u32 v1, vcc_lo, s14, v1
	v_add_co_ci_u32_e32 v2, vcc_lo, s15, v2, vcc_lo
	global_load_b32 v1, v[1:2], off
	s_waitcnt vmcnt(0)
	v_subrev_nc_u32_e32 v19, s4, v1
.LBB9_7:
	s_or_b32 exec_lo, exec_lo, s2
	s_clause 0x1
	s_load_b128 s[16:19], s[0:1], 0x58
	s_load_b64 s[8:9], s[0:1], 0x40
	s_waitcnt vmcnt(1)
	v_sub_co_u32 v17, s2, v5, s5
	s_delay_alu instid0(VALU_DEP_1) | instskip(SKIP_4) | instid1(SALU_CYCLE_1)
	v_subrev_co_ci_u32_e64 v18, s2, 0, v6, s2
	s_mov_b32 s7, s5
	s_mov_b32 s2, exec_lo
	v_cmpx_ge_i64_e64 v[5:6], v[7:8]
	s_xor_b32 s2, exec_lo, s2
	s_or_saveexec_b32 s20, s2
	s_clause 0x1
	s_load_b64 s[2:3], s[0:1], 0x48
	s_load_b64 s[12:13], s[0:1], 0x28
	v_dual_mov_b32 v22, s10 :: v_dual_mov_b32 v5, s10
	s_xor_b32 exec_lo, exec_lo, s20
	s_cbranch_execz .LBB9_9
; %bb.8:
	v_lshlrev_b64 v[1:2], 2, v[17:18]
	v_mov_b32_e32 v22, s10
	s_waitcnt lgkmcnt(0)
	s_delay_alu instid0(VALU_DEP_2) | instskip(NEXT) | instid1(VALU_DEP_3)
	v_add_co_u32 v1, vcc_lo, s8, v1
	v_add_co_ci_u32_e32 v2, vcc_lo, s9, v2, vcc_lo
	global_load_b32 v1, v[1:2], off
	s_waitcnt vmcnt(0)
	v_subrev_nc_u32_e32 v5, s5, v1
.LBB9_9:
	s_or_b32 exec_lo, exec_lo, s20
	v_and_b32_e32 v1, 0xc0, v0
	s_mov_b32 s1, 0
	v_mov_b32_e32 v35, 1
	s_delay_alu instid0(VALU_DEP_2)
	v_or_b32_e32 v23, 0x800, v1
	v_lshlrev_b32_e32 v24, 3, v1
	v_sub_co_u32 v1, vcc_lo, v3, s4
	v_subrev_co_ci_u32_e32 v2, vcc_lo, 0, v4, vcc_lo
	v_sub_co_u32 v3, vcc_lo, v7, s7
	v_subrev_co_ci_u32_e32 v4, vcc_lo, 0, v8, vcc_lo
	s_waitcnt vmcnt(0)
	v_sub_co_u32 v25, vcc_lo, v15, s6
	v_subrev_co_ci_u32_e32 v26, vcc_lo, 0, v16, vcc_lo
	v_mbcnt_lo_u32_b32 v16, -1, 0
	v_min_i32_e32 v15, v5, v19
	v_mov_b32_e32 v5, 0
	s_delay_alu instid0(VALU_DEP_3) | instskip(SKIP_4) | instid1(VALU_DEP_4)
	v_xor_b32_e32 v21, 2, v16
	v_and_b32_e32 v6, 63, v0
	v_or_b32_e32 v0, 32, v16
	v_xor_b32_e32 v20, 16, v16
	v_xor_b32_e32 v29, 1, v16
	v_add_co_u32 v7, vcc_lo, v13, v6
	v_add_co_ci_u32_e32 v8, vcc_lo, 0, v14, vcc_lo
	v_add_co_u32 v13, vcc_lo, v17, v6
	v_add_co_ci_u32_e32 v14, vcc_lo, 0, v18, vcc_lo
	v_xor_b32_e32 v17, 63, v6
	v_cmp_gt_i32_e32 vcc_lo, 32, v0
	s_delay_alu instid0(VALU_DEP_2) | instskip(SKIP_3) | instid1(VALU_DEP_3)
	v_lshrrev_b64 v[17:18], v17, -1
	v_cndmask_b32_e32 v19, v16, v0, vcc_lo
	v_xor_b32_e32 v18, 8, v16
	v_cmp_gt_i32_e32 vcc_lo, 32, v20
	v_dual_cndmask_b32 v19, v16, v20 :: v_dual_lshlrev_b32 v28, 2, v19
	v_xor_b32_e32 v20, 4, v16
	s_delay_alu instid0(VALU_DEP_4) | instskip(SKIP_1) | instid1(VALU_DEP_3)
	v_cmp_gt_i32_e32 vcc_lo, 32, v18
	v_cndmask_b32_e32 v18, v16, v18, vcc_lo
	v_cmp_gt_i32_e32 vcc_lo, 32, v20
	s_delay_alu instid0(VALU_DEP_2)
	v_lshlrev_b32_e32 v30, 2, v18
	v_cndmask_b32_e32 v20, v16, v20, vcc_lo
	v_cmp_gt_i32_e32 vcc_lo, 32, v21
	v_cndmask_b32_e32 v21, v16, v21, vcc_lo
	v_cmp_gt_i32_e32 vcc_lo, 32, v29
	v_add_nc_u32_e32 v27, s6, v6
	v_lshl_or_b32 v0, v6, 3, v24
	s_waitcnt lgkmcnt(0)
	s_add_u32 s6, s16, -4
	v_lshlrev_b32_e32 v32, 2, v21
	v_dual_cndmask_b32 v16, v16, v29 :: v_dual_lshlrev_b32 v29, 2, v19
	v_lshlrev_b32_e32 v31, 2, v20
	v_add_nc_u32_e32 v34, v23, v6
	s_delay_alu instid0(VALU_DEP_3)
	v_dual_mov_b32 v6, v5 :: v_dual_lshlrev_b32 v33, 2, v16
	s_addc_u32 s7, s17, -1
	s_add_u32 s16, s18, -8
	s_addc_u32 s17, s19, -1
	s_branch .LBB9_11
.LBB9_10:                               ;   in Loop: Header=BB9_11 Depth=1
	s_or_b32 exec_lo, exec_lo, s18
	ds_bpermute_b32 v15, v28, v16
	s_bcnt1_i32_b32 s0, vcc_lo
	s_delay_alu instid0(SALU_CYCLE_1) | instskip(NEXT) | instid1(VALU_DEP_1)
	v_add_co_u32 v25, s0, s0, v25
	v_add_co_ci_u32_e64 v26, s0, 0, v26, s0
	s_waitcnt lgkmcnt(0)
	v_min_i32_e32 v15, v15, v16
	ds_bpermute_b32 v16, v29, v15
	s_waitcnt lgkmcnt(0)
	v_min_i32_e32 v15, v16, v15
	ds_bpermute_b32 v16, v30, v15
	;; [unrolled: 3-line block ×5, first 2 shown]
	s_waitcnt lgkmcnt(0)
	v_min_i32_e32 v15, v16, v15
	s_delay_alu instid0(VALU_DEP_1) | instskip(NEXT) | instid1(VALU_DEP_1)
	v_ashrrev_i32_e32 v16, 31, v15
	v_cmp_le_i64_e32 vcc_lo, s[10:11], v[15:16]
	s_or_b32 s1, vcc_lo, s1
	s_delay_alu instid0(SALU_CYCLE_1)
	s_and_not1_b32 exec_lo, exec_lo, s1
	s_cbranch_execz .LBB9_33
.LBB9_11:                               ; =>This Loop Header: Depth=1
                                        ;     Child Loop BB9_14 Depth 2
                                        ;     Child Loop BB9_24 Depth 2
	v_mov_b32_e32 v16, v22
	s_mov_b32 s18, exec_lo
	ds_store_b8 v34, v5
	ds_store_b64 v0, v[5:6]
	s_waitcnt lgkmcnt(0)
	buffer_gl0_inv
	v_cmpx_lt_i64_e64 v[7:8], v[1:2]
	s_cbranch_execz .LBB9_21
; %bb.12:                               ;   in Loop: Header=BB9_11 Depth=1
	v_lshlrev_b64 v[18:19], 2, v[7:8]
	v_lshlrev_b64 v[20:21], 3, v[7:8]
	v_mov_b32_e32 v16, v22
	s_mov_b32 s19, 0
	s_delay_alu instid0(VALU_DEP_3) | instskip(NEXT) | instid1(VALU_DEP_4)
	v_add_co_u32 v18, vcc_lo, s14, v18
	v_add_co_ci_u32_e32 v19, vcc_lo, s15, v19, vcc_lo
	s_delay_alu instid0(VALU_DEP_4)
	v_add_co_u32 v20, vcc_lo, s12, v20
	v_add_co_ci_u32_e32 v21, vcc_lo, s13, v21, vcc_lo
	s_branch .LBB9_14
.LBB9_13:                               ;   in Loop: Header=BB9_14 Depth=2
	s_or_b32 exec_lo, exec_lo, s20
	s_delay_alu instid0(SALU_CYCLE_1) | instskip(NEXT) | instid1(SALU_CYCLE_1)
	s_and_b32 s0, exec_lo, s0
	s_or_b32 s19, s0, s19
	s_delay_alu instid0(SALU_CYCLE_1)
	s_and_not1_b32 exec_lo, exec_lo, s19
	s_cbranch_execz .LBB9_20
.LBB9_14:                               ;   Parent Loop BB9_11 Depth=1
                                        ; =>  This Inner Loop Header: Depth=2
	global_load_b32 v36, v[18:19], off
	s_waitcnt vmcnt(0)
	v_subrev_nc_u32_e32 v37, s4, v36
	s_delay_alu instid0(VALU_DEP_1) | instskip(NEXT) | instid1(VALU_DEP_1)
	v_sub_nc_u32_e32 v36, v37, v15
	v_cmp_gt_u32_e32 vcc_lo, 64, v36
	v_cmp_lt_u32_e64 s0, 63, v36
	s_delay_alu instid0(VALU_DEP_1) | instskip(NEXT) | instid1(SALU_CYCLE_1)
	s_and_saveexec_b32 s20, s0
	s_xor_b32 s0, exec_lo, s20
	s_cbranch_execnz .LBB9_17
; %bb.15:                               ;   in Loop: Header=BB9_14 Depth=2
	s_and_not1_saveexec_b32 s0, s0
	s_cbranch_execnz .LBB9_18
.LBB9_16:                               ;   in Loop: Header=BB9_14 Depth=2
	s_or_b32 exec_lo, exec_lo, s0
	s_mov_b32 s0, -1
	s_and_saveexec_b32 s20, vcc_lo
	s_cbranch_execz .LBB9_13
	s_branch .LBB9_19
.LBB9_17:                               ;   in Loop: Header=BB9_14 Depth=2
	v_min_i32_e32 v16, v37, v16
                                        ; implicit-def: $vgpr36
	s_and_not1_saveexec_b32 s0, s0
	s_cbranch_execz .LBB9_16
.LBB9_18:                               ;   in Loop: Header=BB9_14 Depth=2
	global_load_b64 v[37:38], v[20:21], off
	v_add_nc_u32_e32 v39, v23, v36
	v_lshl_add_u32 v36, v36, 3, v24
	s_waitcnt vmcnt(0)
	v_mul_f64 v[37:38], v[9:10], v[37:38]
	ds_store_b8 v39, v35
	ds_store_b64 v36, v[37:38]
	s_or_b32 exec_lo, exec_lo, s0
	s_mov_b32 s0, -1
	s_and_saveexec_b32 s20, vcc_lo
	s_cbranch_execz .LBB9_13
.LBB9_19:                               ;   in Loop: Header=BB9_14 Depth=2
	v_add_co_u32 v7, vcc_lo, v7, 64
	v_add_co_ci_u32_e32 v8, vcc_lo, 0, v8, vcc_lo
	v_add_co_u32 v18, vcc_lo, 0x100, v18
	v_add_co_ci_u32_e32 v19, vcc_lo, 0, v19, vcc_lo
	s_delay_alu instid0(VALU_DEP_3) | instskip(SKIP_1) | instid1(VALU_DEP_1)
	v_cmp_ge_i64_e32 vcc_lo, v[7:8], v[1:2]
	v_add_co_u32 v20, s0, 0x200, v20
	v_add_co_ci_u32_e64 v21, s0, 0, v21, s0
	s_or_not1_b32 s0, vcc_lo, exec_lo
	s_branch .LBB9_13
.LBB9_20:                               ;   in Loop: Header=BB9_11 Depth=1
	s_or_b32 exec_lo, exec_lo, s19
.LBB9_21:                               ;   in Loop: Header=BB9_11 Depth=1
	s_delay_alu instid0(SALU_CYCLE_1) | instskip(NEXT) | instid1(SALU_CYCLE_1)
	s_or_b32 exec_lo, exec_lo, s18
	s_mov_b32 s18, exec_lo
	s_waitcnt lgkmcnt(0)
	buffer_gl0_inv
	v_cmpx_lt_i64_e64 v[13:14], v[3:4]
	s_cbranch_execz .LBB9_31
; %bb.22:                               ;   in Loop: Header=BB9_11 Depth=1
	v_lshlrev_b64 v[18:19], 2, v[13:14]
	v_lshlrev_b64 v[20:21], 3, v[13:14]
	s_mov_b32 s19, 0
	s_delay_alu instid0(VALU_DEP_2) | instskip(NEXT) | instid1(VALU_DEP_3)
	v_add_co_u32 v18, vcc_lo, s8, v18
	v_add_co_ci_u32_e32 v19, vcc_lo, s9, v19, vcc_lo
	s_delay_alu instid0(VALU_DEP_3) | instskip(NEXT) | instid1(VALU_DEP_4)
	v_add_co_u32 v20, vcc_lo, s2, v20
	v_add_co_ci_u32_e32 v21, vcc_lo, s3, v21, vcc_lo
	s_branch .LBB9_24
.LBB9_23:                               ;   in Loop: Header=BB9_24 Depth=2
	s_or_b32 exec_lo, exec_lo, s20
	s_delay_alu instid0(SALU_CYCLE_1) | instskip(NEXT) | instid1(SALU_CYCLE_1)
	s_and_b32 s0, exec_lo, s0
	s_or_b32 s19, s0, s19
	s_delay_alu instid0(SALU_CYCLE_1)
	s_and_not1_b32 exec_lo, exec_lo, s19
	s_cbranch_execz .LBB9_30
.LBB9_24:                               ;   Parent Loop BB9_11 Depth=1
                                        ; =>  This Inner Loop Header: Depth=2
	global_load_b32 v36, v[18:19], off
	s_waitcnt vmcnt(0)
	v_subrev_nc_u32_e32 v37, s5, v36
	s_delay_alu instid0(VALU_DEP_1) | instskip(NEXT) | instid1(VALU_DEP_1)
	v_sub_nc_u32_e32 v36, v37, v15
	v_cmp_gt_u32_e32 vcc_lo, 64, v36
	v_cmp_lt_u32_e64 s0, 63, v36
	s_delay_alu instid0(VALU_DEP_1) | instskip(NEXT) | instid1(SALU_CYCLE_1)
	s_and_saveexec_b32 s20, s0
	s_xor_b32 s0, exec_lo, s20
	s_cbranch_execnz .LBB9_27
; %bb.25:                               ;   in Loop: Header=BB9_24 Depth=2
	s_and_not1_saveexec_b32 s0, s0
	s_cbranch_execnz .LBB9_28
.LBB9_26:                               ;   in Loop: Header=BB9_24 Depth=2
	s_or_b32 exec_lo, exec_lo, s0
	s_mov_b32 s0, -1
	s_and_saveexec_b32 s20, vcc_lo
	s_cbranch_execz .LBB9_23
	s_branch .LBB9_29
.LBB9_27:                               ;   in Loop: Header=BB9_24 Depth=2
	v_min_i32_e32 v16, v37, v16
                                        ; implicit-def: $vgpr36
	s_and_not1_saveexec_b32 s0, s0
	s_cbranch_execz .LBB9_26
.LBB9_28:                               ;   in Loop: Header=BB9_24 Depth=2
	global_load_b64 v[37:38], v[20:21], off
	v_lshl_add_u32 v41, v36, 3, v24
	v_add_nc_u32_e32 v36, v23, v36
	ds_load_b64 v[39:40], v41
	s_waitcnt vmcnt(0) lgkmcnt(0)
	v_fma_f64 v[37:38], v[11:12], v[37:38], v[39:40]
	ds_store_b8 v36, v35
	ds_store_b64 v41, v[37:38]
	s_or_b32 exec_lo, exec_lo, s0
	s_mov_b32 s0, -1
	s_and_saveexec_b32 s20, vcc_lo
	s_cbranch_execz .LBB9_23
.LBB9_29:                               ;   in Loop: Header=BB9_24 Depth=2
	v_add_co_u32 v13, vcc_lo, v13, 64
	v_add_co_ci_u32_e32 v14, vcc_lo, 0, v14, vcc_lo
	v_add_co_u32 v18, vcc_lo, 0x100, v18
	v_add_co_ci_u32_e32 v19, vcc_lo, 0, v19, vcc_lo
	s_delay_alu instid0(VALU_DEP_3) | instskip(SKIP_1) | instid1(VALU_DEP_1)
	v_cmp_ge_i64_e32 vcc_lo, v[13:14], v[3:4]
	v_add_co_u32 v20, s0, 0x200, v20
	v_add_co_ci_u32_e64 v21, s0, 0, v21, s0
	s_or_not1_b32 s0, vcc_lo, exec_lo
	s_branch .LBB9_23
.LBB9_30:                               ;   in Loop: Header=BB9_11 Depth=1
	s_or_b32 exec_lo, exec_lo, s19
.LBB9_31:                               ;   in Loop: Header=BB9_11 Depth=1
	s_delay_alu instid0(SALU_CYCLE_1)
	s_or_b32 exec_lo, exec_lo, s18
	s_waitcnt lgkmcnt(0)
	buffer_gl0_inv
	ds_load_u8 v18, v34
	s_mov_b32 s18, exec_lo
	s_waitcnt lgkmcnt(0)
	v_and_b32_e32 v19, 1, v18
	v_cmp_ne_u16_e32 vcc_lo, 0, v18
	s_delay_alu instid0(VALU_DEP_2)
	v_cmpx_eq_u32_e32 1, v19
	s_cbranch_execz .LBB9_10
; %bb.32:                               ;   in Loop: Header=BB9_11 Depth=1
	v_and_b32_e32 v18, vcc_lo, v17
	ds_load_b64 v[20:21], v0
	v_add_nc_u32_e32 v15, v27, v15
	v_bcnt_u32_b32 v18, v18, 0
	s_delay_alu instid0(VALU_DEP_1) | instskip(NEXT) | instid1(VALU_DEP_1)
	v_add_co_u32 v18, s0, v25, v18
	v_add_co_ci_u32_e64 v19, s0, 0, v26, s0
	s_delay_alu instid0(VALU_DEP_1) | instskip(SKIP_1) | instid1(VALU_DEP_2)
	v_lshlrev_b64 v[36:37], 2, v[18:19]
	v_lshlrev_b64 v[18:19], 3, v[18:19]
	v_add_co_u32 v36, s0, s6, v36
	s_delay_alu instid0(VALU_DEP_1) | instskip(NEXT) | instid1(VALU_DEP_3)
	v_add_co_ci_u32_e64 v37, s0, s7, v37, s0
	v_add_co_u32 v18, s0, s16, v18
	s_delay_alu instid0(VALU_DEP_1)
	v_add_co_ci_u32_e64 v19, s0, s17, v19, s0
	global_store_b32 v[36:37], v15, off
	s_waitcnt lgkmcnt(0)
	global_store_b64 v[18:19], v[20:21], off
	s_branch .LBB9_10
.LBB9_33:
	s_nop 0
	s_sendmsg sendmsg(MSG_DEALLOC_VGPRS)
	s_endpgm
	.section	.rodata,"a",@progbits
	.p2align	6, 0x0
	.amdhsa_kernel _ZN9rocsparseL29csrgeam_fill_multipass_kernelILj256ELj64ElidEEvllNS_24const_host_device_scalarIT3_EEPKT1_PKT2_PKS2_S3_S6_S9_SB_S6_PS7_PS2_21rocsparse_index_base_SE_SE_bbb
		.amdhsa_group_segment_fixed_size 2304
		.amdhsa_private_segment_fixed_size 0
		.amdhsa_kernarg_size 120
		.amdhsa_user_sgpr_count 15
		.amdhsa_user_sgpr_dispatch_ptr 0
		.amdhsa_user_sgpr_queue_ptr 0
		.amdhsa_user_sgpr_kernarg_segment_ptr 1
		.amdhsa_user_sgpr_dispatch_id 0
		.amdhsa_user_sgpr_private_segment_size 0
		.amdhsa_wavefront_size32 1
		.amdhsa_uses_dynamic_stack 0
		.amdhsa_enable_private_segment 0
		.amdhsa_system_sgpr_workgroup_id_x 1
		.amdhsa_system_sgpr_workgroup_id_y 0
		.amdhsa_system_sgpr_workgroup_id_z 0
		.amdhsa_system_sgpr_workgroup_info 0
		.amdhsa_system_vgpr_workitem_id 0
		.amdhsa_next_free_vgpr 42
		.amdhsa_next_free_sgpr 21
		.amdhsa_reserve_vcc 1
		.amdhsa_float_round_mode_32 0
		.amdhsa_float_round_mode_16_64 0
		.amdhsa_float_denorm_mode_32 3
		.amdhsa_float_denorm_mode_16_64 3
		.amdhsa_dx10_clamp 1
		.amdhsa_ieee_mode 1
		.amdhsa_fp16_overflow 0
		.amdhsa_workgroup_processor_mode 1
		.amdhsa_memory_ordered 1
		.amdhsa_forward_progress 0
		.amdhsa_shared_vgpr_count 0
		.amdhsa_exception_fp_ieee_invalid_op 0
		.amdhsa_exception_fp_denorm_src 0
		.amdhsa_exception_fp_ieee_div_zero 0
		.amdhsa_exception_fp_ieee_overflow 0
		.amdhsa_exception_fp_ieee_underflow 0
		.amdhsa_exception_fp_ieee_inexact 0
		.amdhsa_exception_int_div_zero 0
	.end_amdhsa_kernel
	.section	.text._ZN9rocsparseL29csrgeam_fill_multipass_kernelILj256ELj64ElidEEvllNS_24const_host_device_scalarIT3_EEPKT1_PKT2_PKS2_S3_S6_S9_SB_S6_PS7_PS2_21rocsparse_index_base_SE_SE_bbb,"axG",@progbits,_ZN9rocsparseL29csrgeam_fill_multipass_kernelILj256ELj64ElidEEvllNS_24const_host_device_scalarIT3_EEPKT1_PKT2_PKS2_S3_S6_S9_SB_S6_PS7_PS2_21rocsparse_index_base_SE_SE_bbb,comdat
.Lfunc_end9:
	.size	_ZN9rocsparseL29csrgeam_fill_multipass_kernelILj256ELj64ElidEEvllNS_24const_host_device_scalarIT3_EEPKT1_PKT2_PKS2_S3_S6_S9_SB_S6_PS7_PS2_21rocsparse_index_base_SE_SE_bbb, .Lfunc_end9-_ZN9rocsparseL29csrgeam_fill_multipass_kernelILj256ELj64ElidEEvllNS_24const_host_device_scalarIT3_EEPKT1_PKT2_PKS2_S3_S6_S9_SB_S6_PS7_PS2_21rocsparse_index_base_SE_SE_bbb
                                        ; -- End function
	.section	.AMDGPU.csdata,"",@progbits
; Kernel info:
; codeLenInByte = 1908
; NumSgprs: 23
; NumVgprs: 42
; ScratchSize: 0
; MemoryBound: 0
; FloatMode: 240
; IeeeMode: 1
; LDSByteSize: 2304 bytes/workgroup (compile time only)
; SGPRBlocks: 2
; VGPRBlocks: 5
; NumSGPRsForWavesPerEU: 23
; NumVGPRsForWavesPerEU: 42
; Occupancy: 16
; WaveLimiterHint : 1
; COMPUTE_PGM_RSRC2:SCRATCH_EN: 0
; COMPUTE_PGM_RSRC2:USER_SGPR: 15
; COMPUTE_PGM_RSRC2:TRAP_HANDLER: 0
; COMPUTE_PGM_RSRC2:TGID_X_EN: 1
; COMPUTE_PGM_RSRC2:TGID_Y_EN: 0
; COMPUTE_PGM_RSRC2:TGID_Z_EN: 0
; COMPUTE_PGM_RSRC2:TIDIG_COMP_CNT: 0
	.section	.text._ZN9rocsparseL29csrgeam_fill_multipass_kernelILj256ELj32ElldEEvllNS_24const_host_device_scalarIT3_EEPKT1_PKT2_PKS2_S3_S6_S9_SB_S6_PS7_PS2_21rocsparse_index_base_SE_SE_bbb,"axG",@progbits,_ZN9rocsparseL29csrgeam_fill_multipass_kernelILj256ELj32ElldEEvllNS_24const_host_device_scalarIT3_EEPKT1_PKT2_PKS2_S3_S6_S9_SB_S6_PS7_PS2_21rocsparse_index_base_SE_SE_bbb,comdat
	.globl	_ZN9rocsparseL29csrgeam_fill_multipass_kernelILj256ELj32ElldEEvllNS_24const_host_device_scalarIT3_EEPKT1_PKT2_PKS2_S3_S6_S9_SB_S6_PS7_PS2_21rocsparse_index_base_SE_SE_bbb ; -- Begin function _ZN9rocsparseL29csrgeam_fill_multipass_kernelILj256ELj32ElldEEvllNS_24const_host_device_scalarIT3_EEPKT1_PKT2_PKS2_S3_S6_S9_SB_S6_PS7_PS2_21rocsparse_index_base_SE_SE_bbb
	.p2align	8
	.type	_ZN9rocsparseL29csrgeam_fill_multipass_kernelILj256ELj32ElldEEvllNS_24const_host_device_scalarIT3_EEPKT1_PKT2_PKS2_S3_S6_S9_SB_S6_PS7_PS2_21rocsparse_index_base_SE_SE_bbb,@function
_ZN9rocsparseL29csrgeam_fill_multipass_kernelILj256ELj32ElldEEvllNS_24const_host_device_scalarIT3_EEPKT1_PKT2_PKS2_S3_S6_S9_SB_S6_PS7_PS2_21rocsparse_index_base_SE_SE_bbb: ; @_ZN9rocsparseL29csrgeam_fill_multipass_kernelILj256ELj32ElldEEvllNS_24const_host_device_scalarIT3_EEPKT1_PKT2_PKS2_S3_S6_S9_SB_S6_PS7_PS2_21rocsparse_index_base_SE_SE_bbb
; %bb.0:
	s_clause 0x4
	s_load_b128 s[4:7], s[0:1], 0x68
	s_load_b32 s14, s[0:1], 0x74
	s_load_b64 s[12:13], s[0:1], 0x10
	s_load_b64 s[2:3], s[0:1], 0x30
	s_load_b128 s[8:11], s[0:1], 0x0
	s_waitcnt lgkmcnt(0)
	s_and_b32 s16, 1, s7
	s_bitcmp1_b32 s14, 16
	s_cselect_b32 s7, -1, 0
	s_cmp_eq_u32 s16, 1
	s_cselect_b32 s18, -1, 0
	s_delay_alu instid0(SALU_CYCLE_1)
	s_and_b32 s16, s18, exec_lo
	s_cselect_b32 s17, s13, 0
	s_cselect_b32 s16, s12, 0
	s_xor_b32 s18, s18, -1
	v_dual_mov_b32 v9, s16 :: v_dual_mov_b32 v10, s17
	s_or_b32 s18, s18, s7
	s_delay_alu instid0(SALU_CYCLE_1)
	s_and_b32 vcc_lo, exec_lo, s18
	s_cbranch_vccnz .LBB10_2
; %bb.1:
	v_dual_mov_b32 v1, s12 :: v_dual_mov_b32 v2, s13
	flat_load_b64 v[9:10], v[1:2]
.LBB10_2:
	s_bitcmp1_b32 s14, 8
	s_cselect_b32 s14, -1, 0
	s_delay_alu instid0(SALU_CYCLE_1)
	s_and_b32 s12, s14, exec_lo
	s_cselect_b32 s13, s3, 0
	s_cselect_b32 s12, s2, 0
	s_xor_b32 s14, s14, -1
	v_dual_mov_b32 v11, s12 :: v_dual_mov_b32 v12, s13
	s_or_b32 s7, s14, s7
	s_delay_alu instid0(SALU_CYCLE_1)
	s_and_b32 vcc_lo, exec_lo, s7
	s_cbranch_vccnz .LBB10_4
; %bb.3:
	v_dual_mov_b32 v1, s2 :: v_dual_mov_b32 v2, s3
	flat_load_b64 v[11:12], v[1:2]
.LBB10_4:
	v_lshrrev_b32_e32 v1, 5, v0
	s_lshl_b32 s2, s15, 3
	v_mov_b32_e32 v2, 0
	s_delay_alu instid0(VALU_DEP_2) | instskip(SKIP_1) | instid1(VALU_DEP_1)
	v_and_or_b32 v1, 0x7fffff8, s2, v1
	s_mov_b32 s2, exec_lo
	v_cmpx_gt_i64_e64 s[8:9], v[1:2]
	s_cbranch_execz .LBB10_33
; %bb.5:
	s_clause 0x2
	s_load_b128 s[12:15], s[0:1], 0x18
	s_load_b128 s[16:19], s[0:1], 0x38
	;; [unrolled: 1-line block ×3, first 2 shown]
	v_dual_mov_b32 v18, s11 :: v_dual_lshlrev_b32 v13, 3, v1
	v_mov_b32_e32 v17, s10
	s_mov_b32 s2, exec_lo
	s_waitcnt lgkmcnt(0)
	s_clause 0x2
	global_load_b128 v[1:4], v13, s[12:13]
	global_load_b128 v[5:8], v13, s[16:17]
	global_load_b64 v[15:16], v13, s[20:21]
	s_load_b64 s[12:13], s[0:1], 0x60
	s_waitcnt vmcnt(2)
	v_sub_co_u32 v13, vcc_lo, v1, s4
	v_subrev_co_ci_u32_e32 v14, vcc_lo, 0, v2, vcc_lo
	v_cmpx_lt_i64_e64 v[1:2], v[3:4]
	s_cbranch_execz .LBB10_7
; %bb.6:
	s_delay_alu instid0(VALU_DEP_2) | instskip(NEXT) | instid1(VALU_DEP_1)
	v_lshlrev_b64 v[1:2], 3, v[13:14]
	v_add_co_u32 v1, vcc_lo, s14, v1
	s_delay_alu instid0(VALU_DEP_2)
	v_add_co_ci_u32_e32 v2, vcc_lo, s15, v2, vcc_lo
	global_load_b64 v[1:2], v[1:2], off
	s_waitcnt vmcnt(0)
	v_sub_co_u32 v17, vcc_lo, v1, s4
	v_subrev_co_ci_u32_e32 v18, vcc_lo, 0, v2, vcc_lo
.LBB10_7:
	s_or_b32 exec_lo, exec_lo, s2
	s_clause 0x1
	s_load_b64 s[2:3], s[0:1], 0x48
	s_load_b64 s[8:9], s[0:1], 0x28
	s_waitcnt vmcnt(1)
	v_sub_co_u32 v19, vcc_lo, v5, s5
	v_subrev_co_ci_u32_e32 v20, vcc_lo, 0, v6, vcc_lo
	v_cmp_lt_i64_e32 vcc_lo, v[5:6], v[7:8]
	v_dual_mov_b32 v5, s10 :: v_dual_mov_b32 v6, s11
	s_mov_b32 s1, s5
	s_and_saveexec_b32 s0, vcc_lo
	s_cbranch_execz .LBB10_9
; %bb.8:
	v_lshlrev_b64 v[1:2], 3, v[19:20]
	s_delay_alu instid0(VALU_DEP_1) | instskip(NEXT) | instid1(VALU_DEP_2)
	v_add_co_u32 v1, vcc_lo, s18, v1
	v_add_co_ci_u32_e32 v2, vcc_lo, s19, v2, vcc_lo
	global_load_b64 v[1:2], v[1:2], off
	s_waitcnt vmcnt(0)
	v_sub_co_u32 v5, vcc_lo, v1, s1
	v_subrev_co_ci_u32_e32 v6, vcc_lo, 0, v2, vcc_lo
.LBB10_9:
	s_or_b32 exec_lo, exec_lo, s0
	v_and_b32_e32 v1, 0xe0, v0
	s_waitcnt vmcnt(0)
	v_sub_co_u32 v29, s0, v15, s6
	s_delay_alu instid0(VALU_DEP_1) | instskip(NEXT) | instid1(VALU_DEP_3)
	v_subrev_co_ci_u32_e64 v30, s0, 0, v16, s0
	v_or_b32_e32 v27, 0x800, v1
	v_lshlrev_b32_e32 v28, 3, v1
	v_sub_co_u32 v1, vcc_lo, v3, s4
	v_subrev_co_ci_u32_e32 v2, vcc_lo, 0, v4, vcc_lo
	v_sub_co_u32 v3, vcc_lo, v7, s1
	v_subrev_co_ci_u32_e32 v4, vcc_lo, 0, v8, vcc_lo
	v_cmp_lt_i64_e32 vcc_lo, v[5:6], v[17:18]
	s_mov_b32 s5, 0
	v_mov_b32_e32 v40, 1
	v_cndmask_b32_e32 v16, v18, v6, vcc_lo
	v_mbcnt_lo_u32_b32 v6, -1, 0
	v_cndmask_b32_e32 v15, v17, v5, vcc_lo
	v_mov_b32_e32 v5, 0
	s_delay_alu instid0(VALU_DEP_3) | instskip(SKIP_2) | instid1(VALU_DEP_2)
	v_xor_b32_e32 v18, 8, v6
	v_and_b32_e32 v21, 31, v0
	v_xor_b32_e32 v22, 1, v6
	v_xor_b32_e32 v17, 31, v21
	v_add_co_u32 v7, vcc_lo, v13, v21
	v_add_co_ci_u32_e32 v8, vcc_lo, 0, v14, vcc_lo
	s_delay_alu instid0(VALU_DEP_3) | instskip(SKIP_3) | instid1(VALU_DEP_3)
	v_lshrrev_b32_e64 v31, v17, -1
	v_xor_b32_e32 v17, 16, v6
	v_add_co_u32 v13, vcc_lo, v19, v21
	v_add_co_ci_u32_e32 v14, vcc_lo, 0, v20, vcc_lo
	v_cmp_gt_i32_e32 vcc_lo, 32, v17
	v_xor_b32_e32 v19, 4, v6
	v_xor_b32_e32 v20, 2, v6
	v_cndmask_b32_e32 v17, v6, v17, vcc_lo
	v_cmp_gt_i32_e32 vcc_lo, 32, v18
	v_cndmask_b32_e32 v18, v6, v18, vcc_lo
	v_cmp_gt_i32_e32 vcc_lo, 32, v19
	v_add_co_u32 v32, s0, s6, v21
	v_lshl_or_b32 v0, v21, 3, v28
	v_add_co_ci_u32_e64 v33, null, 0, 0, s0
	v_cndmask_b32_e32 v19, v6, v19, vcc_lo
	v_cmp_gt_i32_e32 vcc_lo, 32, v20
	v_lshlrev_b32_e32 v35, 2, v18
	s_add_u32 s6, s22, -8
	v_add_nc_u32_e32 v39, v27, v21
	v_lshlrev_b32_e32 v36, 2, v19
	v_cndmask_b32_e32 v20, v6, v20, vcc_lo
	v_cmp_gt_i32_e32 vcc_lo, 32, v22
	v_lshlrev_b32_e32 v34, 2, v17
	s_addc_u32 s7, s23, -1
	s_waitcnt lgkmcnt(0)
	s_add_u32 s12, s12, -8
	v_dual_cndmask_b32 v6, v6, v22 :: v_dual_lshlrev_b32 v37, 2, v20
	s_addc_u32 s13, s13, -1
	s_delay_alu instid0(VALU_DEP_1)
	v_lshlrev_b32_e32 v38, 2, v6
	v_mov_b32_e32 v6, v5
	s_branch .LBB10_11
.LBB10_10:                              ;   in Loop: Header=BB10_11 Depth=1
	s_or_b32 exec_lo, exec_lo, s16
	ds_bpermute_b32 v15, v34, v17
	ds_bpermute_b32 v16, v34, v18
	s_waitcnt lgkmcnt(0)
	v_cmp_lt_i64_e64 s0, v[15:16], v[17:18]
	s_delay_alu instid0(VALU_DEP_1)
	v_cndmask_b32_e64 v16, v18, v16, s0
	v_cndmask_b32_e64 v15, v17, v15, s0
	ds_bpermute_b32 v18, v35, v16
	ds_bpermute_b32 v17, v35, v15
	s_waitcnt lgkmcnt(0)
	v_cmp_lt_i64_e64 s0, v[17:18], v[15:16]
	s_delay_alu instid0(VALU_DEP_1)
	v_cndmask_b32_e64 v16, v16, v18, s0
	v_cndmask_b32_e64 v15, v15, v17, s0
	ds_bpermute_b32 v18, v36, v16
	ds_bpermute_b32 v17, v36, v15
	s_waitcnt lgkmcnt(0)
	v_cmp_lt_i64_e64 s0, v[17:18], v[15:16]
	s_delay_alu instid0(VALU_DEP_1)
	v_cndmask_b32_e64 v16, v16, v18, s0
	v_cndmask_b32_e64 v15, v15, v17, s0
	ds_bpermute_b32 v18, v37, v16
	ds_bpermute_b32 v17, v37, v15
	s_waitcnt lgkmcnt(0)
	v_cmp_lt_i64_e64 s0, v[17:18], v[15:16]
	s_delay_alu instid0(VALU_DEP_1)
	v_cndmask_b32_e64 v16, v16, v18, s0
	v_cndmask_b32_e64 v15, v15, v17, s0
	ds_bpermute_b32 v18, v38, v16
	ds_bpermute_b32 v17, v38, v15
	s_waitcnt lgkmcnt(0)
	v_cmp_lt_i64_e64 s0, v[17:18], v[15:16]
	s_delay_alu instid0(VALU_DEP_1) | instskip(SKIP_2) | instid1(SALU_CYCLE_1)
	v_cndmask_b32_e64 v16, v16, v18, s0
	v_cndmask_b32_e64 v15, v15, v17, s0
	s_bcnt1_i32_b32 s0, vcc_lo
	v_add_co_u32 v29, s0, v29, s0
	s_delay_alu instid0(VALU_DEP_2) | instskip(SKIP_2) | instid1(SALU_CYCLE_1)
	v_cmp_le_i64_e32 vcc_lo, s[10:11], v[15:16]
	v_add_co_ci_u32_e64 v30, s0, 0, v30, s0
	s_or_b32 s5, vcc_lo, s5
	s_and_not1_b32 exec_lo, exec_lo, s5
	s_cbranch_execz .LBB10_33
.LBB10_11:                              ; =>This Loop Header: Depth=1
                                        ;     Child Loop BB10_14 Depth 2
                                        ;     Child Loop BB10_24 Depth 2
	v_dual_mov_b32 v18, s11 :: v_dual_mov_b32 v17, s10
	s_mov_b32 s16, exec_lo
	ds_store_b8 v39, v5
	ds_store_b64 v0, v[5:6]
	s_waitcnt lgkmcnt(0)
	buffer_gl0_inv
	v_cmpx_lt_i64_e64 v[7:8], v[1:2]
	s_cbranch_execz .LBB10_21
; %bb.12:                               ;   in Loop: Header=BB10_11 Depth=1
	v_lshlrev_b64 v[17:18], 3, v[7:8]
	s_mov_b32 s17, 0
	s_delay_alu instid0(VALU_DEP_1) | instskip(NEXT) | instid1(VALU_DEP_2)
	v_add_co_u32 v19, vcc_lo, s14, v17
	v_add_co_ci_u32_e32 v20, vcc_lo, s15, v18, vcc_lo
	v_add_co_u32 v21, vcc_lo, s8, v17
	v_add_co_ci_u32_e32 v22, vcc_lo, s9, v18, vcc_lo
	v_dual_mov_b32 v18, s11 :: v_dual_mov_b32 v17, s10
	s_branch .LBB10_14
.LBB10_13:                              ;   in Loop: Header=BB10_14 Depth=2
	s_or_b32 exec_lo, exec_lo, s20
	s_delay_alu instid0(SALU_CYCLE_1) | instskip(NEXT) | instid1(SALU_CYCLE_1)
	s_and_b32 s0, exec_lo, s0
	s_or_b32 s17, s0, s17
	s_delay_alu instid0(SALU_CYCLE_1)
	s_and_not1_b32 exec_lo, exec_lo, s17
	s_cbranch_execz .LBB10_20
.LBB10_14:                              ;   Parent Loop BB10_11 Depth=1
                                        ; =>  This Inner Loop Header: Depth=2
	global_load_b64 v[23:24], v[19:20], off
	s_mov_b32 s20, exec_lo
	s_waitcnt vmcnt(0)
	v_sub_co_u32 v25, vcc_lo, v23, s4
	v_subrev_co_ci_u32_e32 v26, vcc_lo, 0, v24, vcc_lo
	s_delay_alu instid0(VALU_DEP_2) | instskip(NEXT) | instid1(VALU_DEP_2)
	v_sub_co_u32 v23, vcc_lo, v25, v15
	v_sub_co_ci_u32_e32 v24, vcc_lo, v26, v16, vcc_lo
	s_delay_alu instid0(VALU_DEP_1)
	v_cmp_gt_i64_e32 vcc_lo, 32, v[23:24]
	v_cmpx_lt_i64_e32 31, v[23:24]
	s_xor_b32 s20, exec_lo, s20
	s_cbranch_execnz .LBB10_17
; %bb.15:                               ;   in Loop: Header=BB10_14 Depth=2
	s_and_not1_saveexec_b32 s0, s20
	s_cbranch_execnz .LBB10_18
.LBB10_16:                              ;   in Loop: Header=BB10_14 Depth=2
	s_or_b32 exec_lo, exec_lo, s0
	s_mov_b32 s0, -1
	s_and_saveexec_b32 s20, vcc_lo
	s_cbranch_execz .LBB10_13
	s_branch .LBB10_19
.LBB10_17:                              ;   in Loop: Header=BB10_14 Depth=2
	v_cmp_lt_i64_e64 s0, v[25:26], v[17:18]
                                        ; implicit-def: $vgpr23
	s_delay_alu instid0(VALU_DEP_1)
	v_cndmask_b32_e64 v18, v18, v26, s0
	v_cndmask_b32_e64 v17, v17, v25, s0
	s_and_not1_saveexec_b32 s0, s20
	s_cbranch_execz .LBB10_16
.LBB10_18:                              ;   in Loop: Header=BB10_14 Depth=2
	global_load_b64 v[24:25], v[21:22], off
	v_add_nc_u32_e32 v26, v27, v23
	v_lshl_add_u32 v23, v23, 3, v28
	s_waitcnt vmcnt(0)
	v_mul_f64 v[24:25], v[9:10], v[24:25]
	ds_store_b8 v26, v40
	ds_store_b64 v23, v[24:25]
	s_or_b32 exec_lo, exec_lo, s0
	s_mov_b32 s0, -1
	s_and_saveexec_b32 s20, vcc_lo
	s_cbranch_execz .LBB10_13
.LBB10_19:                              ;   in Loop: Header=BB10_14 Depth=2
	v_add_co_u32 v7, vcc_lo, v7, 32
	v_add_co_ci_u32_e32 v8, vcc_lo, 0, v8, vcc_lo
	v_add_co_u32 v19, vcc_lo, 0x100, v19
	v_add_co_ci_u32_e32 v20, vcc_lo, 0, v20, vcc_lo
	s_delay_alu instid0(VALU_DEP_3) | instskip(SKIP_1) | instid1(VALU_DEP_1)
	v_cmp_ge_i64_e32 vcc_lo, v[7:8], v[1:2]
	v_add_co_u32 v21, s0, 0x100, v21
	v_add_co_ci_u32_e64 v22, s0, 0, v22, s0
	s_or_not1_b32 s0, vcc_lo, exec_lo
	s_branch .LBB10_13
.LBB10_20:                              ;   in Loop: Header=BB10_11 Depth=1
	s_or_b32 exec_lo, exec_lo, s17
.LBB10_21:                              ;   in Loop: Header=BB10_11 Depth=1
	s_delay_alu instid0(SALU_CYCLE_1) | instskip(NEXT) | instid1(SALU_CYCLE_1)
	s_or_b32 exec_lo, exec_lo, s16
	s_mov_b32 s16, exec_lo
	s_waitcnt lgkmcnt(0)
	buffer_gl0_inv
	v_cmpx_lt_i64_e64 v[13:14], v[3:4]
	s_cbranch_execz .LBB10_31
; %bb.22:                               ;   in Loop: Header=BB10_11 Depth=1
	v_lshlrev_b64 v[21:22], 3, v[13:14]
	s_mov_b32 s17, 0
	s_delay_alu instid0(VALU_DEP_1) | instskip(NEXT) | instid1(VALU_DEP_2)
	v_add_co_u32 v19, vcc_lo, s18, v21
	v_add_co_ci_u32_e32 v20, vcc_lo, s19, v22, vcc_lo
	v_add_co_u32 v21, vcc_lo, s2, v21
	v_add_co_ci_u32_e32 v22, vcc_lo, s3, v22, vcc_lo
	s_branch .LBB10_24
.LBB10_23:                              ;   in Loop: Header=BB10_24 Depth=2
	s_or_b32 exec_lo, exec_lo, s20
	s_delay_alu instid0(SALU_CYCLE_1) | instskip(NEXT) | instid1(SALU_CYCLE_1)
	s_and_b32 s0, exec_lo, s0
	s_or_b32 s17, s0, s17
	s_delay_alu instid0(SALU_CYCLE_1)
	s_and_not1_b32 exec_lo, exec_lo, s17
	s_cbranch_execz .LBB10_30
.LBB10_24:                              ;   Parent Loop BB10_11 Depth=1
                                        ; =>  This Inner Loop Header: Depth=2
	global_load_b64 v[23:24], v[19:20], off
	s_mov_b32 s20, exec_lo
	s_waitcnt vmcnt(0)
	v_sub_co_u32 v25, vcc_lo, v23, s1
	v_subrev_co_ci_u32_e32 v26, vcc_lo, 0, v24, vcc_lo
	s_delay_alu instid0(VALU_DEP_2) | instskip(NEXT) | instid1(VALU_DEP_2)
	v_sub_co_u32 v23, vcc_lo, v25, v15
	v_sub_co_ci_u32_e32 v24, vcc_lo, v26, v16, vcc_lo
	s_delay_alu instid0(VALU_DEP_1)
	v_cmp_gt_i64_e32 vcc_lo, 32, v[23:24]
	v_cmpx_lt_i64_e32 31, v[23:24]
	s_xor_b32 s20, exec_lo, s20
	s_cbranch_execnz .LBB10_27
; %bb.25:                               ;   in Loop: Header=BB10_24 Depth=2
	s_and_not1_saveexec_b32 s0, s20
	s_cbranch_execnz .LBB10_28
.LBB10_26:                              ;   in Loop: Header=BB10_24 Depth=2
	s_or_b32 exec_lo, exec_lo, s0
	s_mov_b32 s0, -1
	s_and_saveexec_b32 s20, vcc_lo
	s_cbranch_execz .LBB10_23
	s_branch .LBB10_29
.LBB10_27:                              ;   in Loop: Header=BB10_24 Depth=2
	v_cmp_lt_i64_e64 s0, v[25:26], v[17:18]
                                        ; implicit-def: $vgpr23
	s_delay_alu instid0(VALU_DEP_1)
	v_cndmask_b32_e64 v18, v18, v26, s0
	v_cndmask_b32_e64 v17, v17, v25, s0
	s_and_not1_saveexec_b32 s0, s20
	s_cbranch_execz .LBB10_26
.LBB10_28:                              ;   in Loop: Header=BB10_24 Depth=2
	global_load_b64 v[24:25], v[21:22], off
	v_lshl_add_u32 v26, v23, 3, v28
	v_add_nc_u32_e32 v23, v27, v23
	ds_load_b64 v[41:42], v26
	s_waitcnt vmcnt(0) lgkmcnt(0)
	v_fma_f64 v[24:25], v[11:12], v[24:25], v[41:42]
	ds_store_b8 v23, v40
	ds_store_b64 v26, v[24:25]
	s_or_b32 exec_lo, exec_lo, s0
	s_mov_b32 s0, -1
	s_and_saveexec_b32 s20, vcc_lo
	s_cbranch_execz .LBB10_23
.LBB10_29:                              ;   in Loop: Header=BB10_24 Depth=2
	v_add_co_u32 v13, vcc_lo, v13, 32
	v_add_co_ci_u32_e32 v14, vcc_lo, 0, v14, vcc_lo
	v_add_co_u32 v19, vcc_lo, 0x100, v19
	v_add_co_ci_u32_e32 v20, vcc_lo, 0, v20, vcc_lo
	s_delay_alu instid0(VALU_DEP_3) | instskip(SKIP_1) | instid1(VALU_DEP_1)
	v_cmp_ge_i64_e32 vcc_lo, v[13:14], v[3:4]
	v_add_co_u32 v21, s0, 0x100, v21
	v_add_co_ci_u32_e64 v22, s0, 0, v22, s0
	s_or_not1_b32 s0, vcc_lo, exec_lo
	s_branch .LBB10_23
.LBB10_30:                              ;   in Loop: Header=BB10_11 Depth=1
	s_or_b32 exec_lo, exec_lo, s17
.LBB10_31:                              ;   in Loop: Header=BB10_11 Depth=1
	s_delay_alu instid0(SALU_CYCLE_1)
	s_or_b32 exec_lo, exec_lo, s16
	s_waitcnt lgkmcnt(0)
	buffer_gl0_inv
	ds_load_u8 v19, v39
	s_mov_b32 s16, exec_lo
	s_waitcnt lgkmcnt(0)
	v_and_b32_e32 v20, 1, v19
	v_cmp_ne_u16_e32 vcc_lo, 0, v19
	s_delay_alu instid0(VALU_DEP_2)
	v_cmpx_eq_u32_e32 1, v20
	s_cbranch_execz .LBB10_10
; %bb.32:                               ;   in Loop: Header=BB10_11 Depth=1
	v_and_b32_e32 v19, vcc_lo, v31
	ds_load_b64 v[21:22], v0
	v_bcnt_u32_b32 v19, v19, 0
	s_delay_alu instid0(VALU_DEP_1) | instskip(NEXT) | instid1(VALU_DEP_1)
	v_add_co_u32 v19, s0, v29, v19
	v_add_co_ci_u32_e64 v20, s0, 0, v30, s0
	v_add_co_u32 v15, s0, v32, v15
	s_delay_alu instid0(VALU_DEP_1) | instskip(NEXT) | instid1(VALU_DEP_3)
	v_add_co_ci_u32_e64 v16, s0, v33, v16, s0
	v_lshlrev_b64 v[19:20], 3, v[19:20]
	s_delay_alu instid0(VALU_DEP_1) | instskip(NEXT) | instid1(VALU_DEP_1)
	v_add_co_u32 v23, s0, s6, v19
	v_add_co_ci_u32_e64 v24, s0, s7, v20, s0
	v_add_co_u32 v19, s0, s12, v19
	s_delay_alu instid0(VALU_DEP_1)
	v_add_co_ci_u32_e64 v20, s0, s13, v20, s0
	global_store_b64 v[23:24], v[15:16], off
	s_waitcnt lgkmcnt(0)
	global_store_b64 v[19:20], v[21:22], off
	s_branch .LBB10_10
.LBB10_33:
	s_nop 0
	s_sendmsg sendmsg(MSG_DEALLOC_VGPRS)
	s_endpgm
	.section	.rodata,"a",@progbits
	.p2align	6, 0x0
	.amdhsa_kernel _ZN9rocsparseL29csrgeam_fill_multipass_kernelILj256ELj32ElldEEvllNS_24const_host_device_scalarIT3_EEPKT1_PKT2_PKS2_S3_S6_S9_SB_S6_PS7_PS2_21rocsparse_index_base_SE_SE_bbb
		.amdhsa_group_segment_fixed_size 2304
		.amdhsa_private_segment_fixed_size 0
		.amdhsa_kernarg_size 120
		.amdhsa_user_sgpr_count 15
		.amdhsa_user_sgpr_dispatch_ptr 0
		.amdhsa_user_sgpr_queue_ptr 0
		.amdhsa_user_sgpr_kernarg_segment_ptr 1
		.amdhsa_user_sgpr_dispatch_id 0
		.amdhsa_user_sgpr_private_segment_size 0
		.amdhsa_wavefront_size32 1
		.amdhsa_uses_dynamic_stack 0
		.amdhsa_enable_private_segment 0
		.amdhsa_system_sgpr_workgroup_id_x 1
		.amdhsa_system_sgpr_workgroup_id_y 0
		.amdhsa_system_sgpr_workgroup_id_z 0
		.amdhsa_system_sgpr_workgroup_info 0
		.amdhsa_system_vgpr_workitem_id 0
		.amdhsa_next_free_vgpr 43
		.amdhsa_next_free_sgpr 24
		.amdhsa_reserve_vcc 1
		.amdhsa_float_round_mode_32 0
		.amdhsa_float_round_mode_16_64 0
		.amdhsa_float_denorm_mode_32 3
		.amdhsa_float_denorm_mode_16_64 3
		.amdhsa_dx10_clamp 1
		.amdhsa_ieee_mode 1
		.amdhsa_fp16_overflow 0
		.amdhsa_workgroup_processor_mode 1
		.amdhsa_memory_ordered 1
		.amdhsa_forward_progress 0
		.amdhsa_shared_vgpr_count 0
		.amdhsa_exception_fp_ieee_invalid_op 0
		.amdhsa_exception_fp_denorm_src 0
		.amdhsa_exception_fp_ieee_div_zero 0
		.amdhsa_exception_fp_ieee_overflow 0
		.amdhsa_exception_fp_ieee_underflow 0
		.amdhsa_exception_fp_ieee_inexact 0
		.amdhsa_exception_int_div_zero 0
	.end_amdhsa_kernel
	.section	.text._ZN9rocsparseL29csrgeam_fill_multipass_kernelILj256ELj32ElldEEvllNS_24const_host_device_scalarIT3_EEPKT1_PKT2_PKS2_S3_S6_S9_SB_S6_PS7_PS2_21rocsparse_index_base_SE_SE_bbb,"axG",@progbits,_ZN9rocsparseL29csrgeam_fill_multipass_kernelILj256ELj32ElldEEvllNS_24const_host_device_scalarIT3_EEPKT1_PKT2_PKS2_S3_S6_S9_SB_S6_PS7_PS2_21rocsparse_index_base_SE_SE_bbb,comdat
.Lfunc_end10:
	.size	_ZN9rocsparseL29csrgeam_fill_multipass_kernelILj256ELj32ElldEEvllNS_24const_host_device_scalarIT3_EEPKT1_PKT2_PKS2_S3_S6_S9_SB_S6_PS7_PS2_21rocsparse_index_base_SE_SE_bbb, .Lfunc_end10-_ZN9rocsparseL29csrgeam_fill_multipass_kernelILj256ELj32ElldEEvllNS_24const_host_device_scalarIT3_EEPKT1_PKT2_PKS2_S3_S6_S9_SB_S6_PS7_PS2_21rocsparse_index_base_SE_SE_bbb
                                        ; -- End function
	.section	.AMDGPU.csdata,"",@progbits
; Kernel info:
; codeLenInByte = 2060
; NumSgprs: 26
; NumVgprs: 43
; ScratchSize: 0
; MemoryBound: 0
; FloatMode: 240
; IeeeMode: 1
; LDSByteSize: 2304 bytes/workgroup (compile time only)
; SGPRBlocks: 3
; VGPRBlocks: 5
; NumSGPRsForWavesPerEU: 26
; NumVGPRsForWavesPerEU: 43
; Occupancy: 16
; WaveLimiterHint : 1
; COMPUTE_PGM_RSRC2:SCRATCH_EN: 0
; COMPUTE_PGM_RSRC2:USER_SGPR: 15
; COMPUTE_PGM_RSRC2:TRAP_HANDLER: 0
; COMPUTE_PGM_RSRC2:TGID_X_EN: 1
; COMPUTE_PGM_RSRC2:TGID_Y_EN: 0
; COMPUTE_PGM_RSRC2:TGID_Z_EN: 0
; COMPUTE_PGM_RSRC2:TIDIG_COMP_CNT: 0
	.section	.text._ZN9rocsparseL29csrgeam_fill_multipass_kernelILj256ELj64ElldEEvllNS_24const_host_device_scalarIT3_EEPKT1_PKT2_PKS2_S3_S6_S9_SB_S6_PS7_PS2_21rocsparse_index_base_SE_SE_bbb,"axG",@progbits,_ZN9rocsparseL29csrgeam_fill_multipass_kernelILj256ELj64ElldEEvllNS_24const_host_device_scalarIT3_EEPKT1_PKT2_PKS2_S3_S6_S9_SB_S6_PS7_PS2_21rocsparse_index_base_SE_SE_bbb,comdat
	.globl	_ZN9rocsparseL29csrgeam_fill_multipass_kernelILj256ELj64ElldEEvllNS_24const_host_device_scalarIT3_EEPKT1_PKT2_PKS2_S3_S6_S9_SB_S6_PS7_PS2_21rocsparse_index_base_SE_SE_bbb ; -- Begin function _ZN9rocsparseL29csrgeam_fill_multipass_kernelILj256ELj64ElldEEvllNS_24const_host_device_scalarIT3_EEPKT1_PKT2_PKS2_S3_S6_S9_SB_S6_PS7_PS2_21rocsparse_index_base_SE_SE_bbb
	.p2align	8
	.type	_ZN9rocsparseL29csrgeam_fill_multipass_kernelILj256ELj64ElldEEvllNS_24const_host_device_scalarIT3_EEPKT1_PKT2_PKS2_S3_S6_S9_SB_S6_PS7_PS2_21rocsparse_index_base_SE_SE_bbb,@function
_ZN9rocsparseL29csrgeam_fill_multipass_kernelILj256ELj64ElldEEvllNS_24const_host_device_scalarIT3_EEPKT1_PKT2_PKS2_S3_S6_S9_SB_S6_PS7_PS2_21rocsparse_index_base_SE_SE_bbb: ; @_ZN9rocsparseL29csrgeam_fill_multipass_kernelILj256ELj64ElldEEvllNS_24const_host_device_scalarIT3_EEPKT1_PKT2_PKS2_S3_S6_S9_SB_S6_PS7_PS2_21rocsparse_index_base_SE_SE_bbb
; %bb.0:
	s_clause 0x4
	s_load_b128 s[4:7], s[0:1], 0x68
	s_load_b32 s14, s[0:1], 0x74
	s_load_b64 s[12:13], s[0:1], 0x10
	s_load_b64 s[2:3], s[0:1], 0x30
	s_load_b128 s[8:11], s[0:1], 0x0
	s_waitcnt lgkmcnt(0)
	s_and_b32 s16, 1, s7
	s_bitcmp1_b32 s14, 16
	s_cselect_b32 s7, -1, 0
	s_cmp_eq_u32 s16, 1
	s_cselect_b32 s18, -1, 0
	s_delay_alu instid0(SALU_CYCLE_1)
	s_and_b32 s16, s18, exec_lo
	s_cselect_b32 s17, s13, 0
	s_cselect_b32 s16, s12, 0
	s_xor_b32 s18, s18, -1
	v_dual_mov_b32 v9, s16 :: v_dual_mov_b32 v10, s17
	s_or_b32 s18, s18, s7
	s_delay_alu instid0(SALU_CYCLE_1)
	s_and_b32 vcc_lo, exec_lo, s18
	s_cbranch_vccnz .LBB11_2
; %bb.1:
	v_dual_mov_b32 v1, s12 :: v_dual_mov_b32 v2, s13
	flat_load_b64 v[9:10], v[1:2]
.LBB11_2:
	s_bitcmp1_b32 s14, 8
	s_cselect_b32 s14, -1, 0
	s_delay_alu instid0(SALU_CYCLE_1)
	s_and_b32 s12, s14, exec_lo
	s_cselect_b32 s13, s3, 0
	s_cselect_b32 s12, s2, 0
	s_xor_b32 s14, s14, -1
	v_dual_mov_b32 v11, s12 :: v_dual_mov_b32 v12, s13
	s_or_b32 s7, s14, s7
	s_delay_alu instid0(SALU_CYCLE_1)
	s_and_b32 vcc_lo, exec_lo, s7
	s_cbranch_vccnz .LBB11_4
; %bb.3:
	v_dual_mov_b32 v1, s2 :: v_dual_mov_b32 v2, s3
	flat_load_b64 v[11:12], v[1:2]
.LBB11_4:
	v_lshrrev_b32_e32 v1, 6, v0
	s_lshl_b32 s2, s15, 2
	v_mov_b32_e32 v2, 0
	s_delay_alu instid0(VALU_DEP_2) | instskip(SKIP_1) | instid1(VALU_DEP_1)
	v_and_or_b32 v1, 0x3fffffc, s2, v1
	s_mov_b32 s2, exec_lo
	v_cmpx_gt_i64_e64 s[8:9], v[1:2]
	s_cbranch_execz .LBB11_33
; %bb.5:
	s_clause 0x2
	s_load_b128 s[12:15], s[0:1], 0x18
	s_load_b128 s[16:19], s[0:1], 0x38
	;; [unrolled: 1-line block ×3, first 2 shown]
	v_dual_mov_b32 v18, s11 :: v_dual_lshlrev_b32 v13, 3, v1
	v_mov_b32_e32 v17, s10
	s_mov_b32 s2, exec_lo
	s_waitcnt lgkmcnt(0)
	s_clause 0x2
	global_load_b128 v[1:4], v13, s[12:13]
	global_load_b128 v[5:8], v13, s[16:17]
	global_load_b64 v[15:16], v13, s[20:21]
	s_load_b64 s[12:13], s[0:1], 0x60
	s_waitcnt vmcnt(2)
	v_sub_co_u32 v13, vcc_lo, v1, s4
	v_subrev_co_ci_u32_e32 v14, vcc_lo, 0, v2, vcc_lo
	v_cmpx_lt_i64_e64 v[1:2], v[3:4]
	s_cbranch_execz .LBB11_7
; %bb.6:
	s_delay_alu instid0(VALU_DEP_2) | instskip(NEXT) | instid1(VALU_DEP_1)
	v_lshlrev_b64 v[1:2], 3, v[13:14]
	v_add_co_u32 v1, vcc_lo, s14, v1
	s_delay_alu instid0(VALU_DEP_2)
	v_add_co_ci_u32_e32 v2, vcc_lo, s15, v2, vcc_lo
	global_load_b64 v[1:2], v[1:2], off
	s_waitcnt vmcnt(0)
	v_sub_co_u32 v17, vcc_lo, v1, s4
	v_subrev_co_ci_u32_e32 v18, vcc_lo, 0, v2, vcc_lo
.LBB11_7:
	s_or_b32 exec_lo, exec_lo, s2
	s_clause 0x1
	s_load_b64 s[2:3], s[0:1], 0x48
	s_load_b64 s[8:9], s[0:1], 0x28
	s_waitcnt vmcnt(1)
	v_sub_co_u32 v19, vcc_lo, v5, s5
	v_subrev_co_ci_u32_e32 v20, vcc_lo, 0, v6, vcc_lo
	v_cmp_lt_i64_e32 vcc_lo, v[5:6], v[7:8]
	v_dual_mov_b32 v5, s10 :: v_dual_mov_b32 v6, s11
	s_mov_b32 s1, s5
	s_and_saveexec_b32 s0, vcc_lo
	s_cbranch_execz .LBB11_9
; %bb.8:
	v_lshlrev_b64 v[1:2], 3, v[19:20]
	s_delay_alu instid0(VALU_DEP_1) | instskip(NEXT) | instid1(VALU_DEP_2)
	v_add_co_u32 v1, vcc_lo, s18, v1
	v_add_co_ci_u32_e32 v2, vcc_lo, s19, v2, vcc_lo
	global_load_b64 v[1:2], v[1:2], off
	s_waitcnt vmcnt(0)
	v_sub_co_u32 v5, vcc_lo, v1, s1
	v_subrev_co_ci_u32_e32 v6, vcc_lo, 0, v2, vcc_lo
.LBB11_9:
	s_or_b32 exec_lo, exec_lo, s0
	v_and_b32_e32 v1, 0xc0, v0
	s_waitcnt vmcnt(0)
	v_sub_co_u32 v31, s0, v15, s6
	s_delay_alu instid0(VALU_DEP_1) | instskip(NEXT) | instid1(VALU_DEP_3)
	v_subrev_co_ci_u32_e64 v32, s0, 0, v16, s0
	v_or_b32_e32 v29, 0x800, v1
	v_lshlrev_b32_e32 v30, 3, v1
	v_sub_co_u32 v1, vcc_lo, v3, s4
	v_subrev_co_ci_u32_e32 v2, vcc_lo, 0, v4, vcc_lo
	v_sub_co_u32 v3, vcc_lo, v7, s1
	v_subrev_co_ci_u32_e32 v4, vcc_lo, 0, v8, vcc_lo
	v_cmp_lt_i64_e32 vcc_lo, v[5:6], v[17:18]
	s_mov_b32 s5, 0
	v_dual_mov_b32 v41, 1 :: v_dual_cndmask_b32 v18, v18, v6
	v_mbcnt_lo_u32_b32 v6, -1, 0
	v_and_b32_e32 v21, 63, v0
	v_cndmask_b32_e32 v17, v17, v5, vcc_lo
	v_mov_b32_e32 v5, 0
	s_delay_alu instid0(VALU_DEP_4) | instskip(NEXT) | instid1(VALU_DEP_4)
	v_or_b32_e32 v22, 32, v6
	v_add_co_u32 v7, vcc_lo, v13, v21
	v_add_co_ci_u32_e32 v8, vcc_lo, 0, v14, vcc_lo
	v_add_co_u32 v13, vcc_lo, v19, v21
	v_add_co_ci_u32_e32 v14, vcc_lo, 0, v20, vcc_lo
	v_cmp_gt_i32_e32 vcc_lo, 32, v22
	v_xor_b32_e32 v20, 16, v6
	v_xor_b32_e32 v23, 2, v6
	;; [unrolled: 1-line block ×3, first 2 shown]
	v_cndmask_b32_e32 v19, v6, v22, vcc_lo
	s_delay_alu instid0(VALU_DEP_4) | instskip(SKIP_1) | instid1(VALU_DEP_3)
	v_cmp_gt_i32_e32 vcc_lo, 32, v20
	v_xor_b32_e32 v22, 4, v6
	v_lshlrev_b32_e32 v34, 2, v19
	v_xor_b32_e32 v19, 8, v6
	v_cndmask_b32_e32 v20, v6, v20, vcc_lo
	s_delay_alu instid0(VALU_DEP_2)
	v_cmp_gt_i32_e32 vcc_lo, 32, v19
	v_cndmask_b32_e32 v19, v6, v19, vcc_lo
	v_cmp_gt_i32_e32 vcc_lo, 32, v22
	v_cndmask_b32_e32 v22, v6, v22, vcc_lo
	v_add_nc_u32_e32 v40, v29, v21
	v_cmp_gt_i32_e32 vcc_lo, 32, v23
	v_xor_b32_e32 v15, 63, v21
	v_lshl_or_b32 v0, v21, 3, v30
	v_lshlrev_b32_e32 v36, 2, v19
	v_lshlrev_b32_e32 v37, 2, v22
	v_cndmask_b32_e32 v23, v6, v23, vcc_lo
	v_cmp_gt_i32_e32 vcc_lo, 32, v24
	v_lshrrev_b64 v[15:16], v15, -1
	v_add_co_u32 v16, s0, s6, v21
	s_delay_alu instid0(VALU_DEP_1)
	v_add_co_ci_u32_e64 v33, null, 0, 0, s0
	v_cndmask_b32_e32 v6, v6, v24, vcc_lo
	v_lshlrev_b32_e32 v35, 2, v20
	s_add_u32 s6, s22, -8
	s_addc_u32 s7, s23, -1
	s_waitcnt lgkmcnt(0)
	s_add_u32 s12, s12, -8
	v_dual_mov_b32 v6, v5 :: v_dual_lshlrev_b32 v39, 2, v6
	v_lshlrev_b32_e32 v38, 2, v23
	s_addc_u32 s13, s13, -1
	s_branch .LBB11_11
.LBB11_10:                              ;   in Loop: Header=BB11_11 Depth=1
	s_or_b32 exec_lo, exec_lo, s16
	ds_bpermute_b32 v17, v34, v19
	ds_bpermute_b32 v18, v34, v20
	s_waitcnt lgkmcnt(0)
	v_cmp_lt_i64_e64 s0, v[17:18], v[19:20]
	s_delay_alu instid0(VALU_DEP_1)
	v_cndmask_b32_e64 v18, v20, v18, s0
	v_cndmask_b32_e64 v17, v19, v17, s0
	ds_bpermute_b32 v20, v35, v18
	ds_bpermute_b32 v19, v35, v17
	s_waitcnt lgkmcnt(0)
	v_cmp_lt_i64_e64 s0, v[19:20], v[17:18]
	s_delay_alu instid0(VALU_DEP_1)
	v_cndmask_b32_e64 v18, v18, v20, s0
	v_cndmask_b32_e64 v17, v17, v19, s0
	;; [unrolled: 7-line block ×5, first 2 shown]
	ds_bpermute_b32 v20, v39, v18
	ds_bpermute_b32 v19, v39, v17
	s_waitcnt lgkmcnt(0)
	v_cmp_lt_i64_e64 s0, v[19:20], v[17:18]
	s_delay_alu instid0(VALU_DEP_1) | instskip(SKIP_2) | instid1(SALU_CYCLE_1)
	v_cndmask_b32_e64 v18, v18, v20, s0
	v_cndmask_b32_e64 v17, v17, v19, s0
	s_bcnt1_i32_b32 s0, vcc_lo
	v_add_co_u32 v31, s0, s0, v31
	s_delay_alu instid0(VALU_DEP_2) | instskip(SKIP_2) | instid1(SALU_CYCLE_1)
	v_cmp_le_i64_e32 vcc_lo, s[10:11], v[17:18]
	v_add_co_ci_u32_e64 v32, s0, 0, v32, s0
	s_or_b32 s5, vcc_lo, s5
	s_and_not1_b32 exec_lo, exec_lo, s5
	s_cbranch_execz .LBB11_33
.LBB11_11:                              ; =>This Loop Header: Depth=1
                                        ;     Child Loop BB11_14 Depth 2
                                        ;     Child Loop BB11_24 Depth 2
	v_dual_mov_b32 v20, s11 :: v_dual_mov_b32 v19, s10
	s_mov_b32 s16, exec_lo
	ds_store_b8 v40, v5
	ds_store_b64 v0, v[5:6]
	s_waitcnt lgkmcnt(0)
	buffer_gl0_inv
	v_cmpx_lt_i64_e64 v[7:8], v[1:2]
	s_cbranch_execz .LBB11_21
; %bb.12:                               ;   in Loop: Header=BB11_11 Depth=1
	v_lshlrev_b64 v[19:20], 3, v[7:8]
	s_mov_b32 s17, 0
	s_delay_alu instid0(VALU_DEP_1) | instskip(NEXT) | instid1(VALU_DEP_2)
	v_add_co_u32 v21, vcc_lo, s14, v19
	v_add_co_ci_u32_e32 v22, vcc_lo, s15, v20, vcc_lo
	v_add_co_u32 v23, vcc_lo, s8, v19
	v_add_co_ci_u32_e32 v24, vcc_lo, s9, v20, vcc_lo
	v_dual_mov_b32 v20, s11 :: v_dual_mov_b32 v19, s10
	s_branch .LBB11_14
.LBB11_13:                              ;   in Loop: Header=BB11_14 Depth=2
	s_or_b32 exec_lo, exec_lo, s20
	s_delay_alu instid0(SALU_CYCLE_1) | instskip(NEXT) | instid1(SALU_CYCLE_1)
	s_and_b32 s0, exec_lo, s0
	s_or_b32 s17, s0, s17
	s_delay_alu instid0(SALU_CYCLE_1)
	s_and_not1_b32 exec_lo, exec_lo, s17
	s_cbranch_execz .LBB11_20
.LBB11_14:                              ;   Parent Loop BB11_11 Depth=1
                                        ; =>  This Inner Loop Header: Depth=2
	global_load_b64 v[25:26], v[21:22], off
	s_mov_b32 s20, exec_lo
	s_waitcnt vmcnt(0)
	v_sub_co_u32 v27, vcc_lo, v25, s4
	v_subrev_co_ci_u32_e32 v28, vcc_lo, 0, v26, vcc_lo
	s_delay_alu instid0(VALU_DEP_2) | instskip(NEXT) | instid1(VALU_DEP_2)
	v_sub_co_u32 v25, vcc_lo, v27, v17
	v_sub_co_ci_u32_e32 v26, vcc_lo, v28, v18, vcc_lo
	s_delay_alu instid0(VALU_DEP_1)
	v_cmp_gt_i64_e32 vcc_lo, 64, v[25:26]
	v_cmpx_lt_i64_e32 63, v[25:26]
	s_xor_b32 s20, exec_lo, s20
	s_cbranch_execnz .LBB11_17
; %bb.15:                               ;   in Loop: Header=BB11_14 Depth=2
	s_and_not1_saveexec_b32 s0, s20
	s_cbranch_execnz .LBB11_18
.LBB11_16:                              ;   in Loop: Header=BB11_14 Depth=2
	s_or_b32 exec_lo, exec_lo, s0
	s_mov_b32 s0, -1
	s_and_saveexec_b32 s20, vcc_lo
	s_cbranch_execz .LBB11_13
	s_branch .LBB11_19
.LBB11_17:                              ;   in Loop: Header=BB11_14 Depth=2
	v_cmp_lt_i64_e64 s0, v[27:28], v[19:20]
                                        ; implicit-def: $vgpr25
	s_delay_alu instid0(VALU_DEP_1)
	v_cndmask_b32_e64 v20, v20, v28, s0
	v_cndmask_b32_e64 v19, v19, v27, s0
	s_and_not1_saveexec_b32 s0, s20
	s_cbranch_execz .LBB11_16
.LBB11_18:                              ;   in Loop: Header=BB11_14 Depth=2
	global_load_b64 v[26:27], v[23:24], off
	v_add_nc_u32_e32 v28, v29, v25
	v_lshl_add_u32 v25, v25, 3, v30
	s_waitcnt vmcnt(0)
	v_mul_f64 v[26:27], v[9:10], v[26:27]
	ds_store_b8 v28, v41
	ds_store_b64 v25, v[26:27]
	s_or_b32 exec_lo, exec_lo, s0
	s_mov_b32 s0, -1
	s_and_saveexec_b32 s20, vcc_lo
	s_cbranch_execz .LBB11_13
.LBB11_19:                              ;   in Loop: Header=BB11_14 Depth=2
	v_add_co_u32 v7, vcc_lo, v7, 64
	v_add_co_ci_u32_e32 v8, vcc_lo, 0, v8, vcc_lo
	v_add_co_u32 v21, vcc_lo, 0x200, v21
	v_add_co_ci_u32_e32 v22, vcc_lo, 0, v22, vcc_lo
	s_delay_alu instid0(VALU_DEP_3) | instskip(SKIP_1) | instid1(VALU_DEP_1)
	v_cmp_ge_i64_e32 vcc_lo, v[7:8], v[1:2]
	v_add_co_u32 v23, s0, 0x200, v23
	v_add_co_ci_u32_e64 v24, s0, 0, v24, s0
	s_or_not1_b32 s0, vcc_lo, exec_lo
	s_branch .LBB11_13
.LBB11_20:                              ;   in Loop: Header=BB11_11 Depth=1
	s_or_b32 exec_lo, exec_lo, s17
.LBB11_21:                              ;   in Loop: Header=BB11_11 Depth=1
	s_delay_alu instid0(SALU_CYCLE_1) | instskip(NEXT) | instid1(SALU_CYCLE_1)
	s_or_b32 exec_lo, exec_lo, s16
	s_mov_b32 s16, exec_lo
	s_waitcnt lgkmcnt(0)
	buffer_gl0_inv
	v_cmpx_lt_i64_e64 v[13:14], v[3:4]
	s_cbranch_execz .LBB11_31
; %bb.22:                               ;   in Loop: Header=BB11_11 Depth=1
	v_lshlrev_b64 v[23:24], 3, v[13:14]
	s_mov_b32 s17, 0
	s_delay_alu instid0(VALU_DEP_1) | instskip(NEXT) | instid1(VALU_DEP_2)
	v_add_co_u32 v21, vcc_lo, s18, v23
	v_add_co_ci_u32_e32 v22, vcc_lo, s19, v24, vcc_lo
	v_add_co_u32 v23, vcc_lo, s2, v23
	v_add_co_ci_u32_e32 v24, vcc_lo, s3, v24, vcc_lo
	s_branch .LBB11_24
.LBB11_23:                              ;   in Loop: Header=BB11_24 Depth=2
	s_or_b32 exec_lo, exec_lo, s20
	s_delay_alu instid0(SALU_CYCLE_1) | instskip(NEXT) | instid1(SALU_CYCLE_1)
	s_and_b32 s0, exec_lo, s0
	s_or_b32 s17, s0, s17
	s_delay_alu instid0(SALU_CYCLE_1)
	s_and_not1_b32 exec_lo, exec_lo, s17
	s_cbranch_execz .LBB11_30
.LBB11_24:                              ;   Parent Loop BB11_11 Depth=1
                                        ; =>  This Inner Loop Header: Depth=2
	global_load_b64 v[25:26], v[21:22], off
	s_mov_b32 s20, exec_lo
	s_waitcnt vmcnt(0)
	v_sub_co_u32 v27, vcc_lo, v25, s1
	v_subrev_co_ci_u32_e32 v28, vcc_lo, 0, v26, vcc_lo
	s_delay_alu instid0(VALU_DEP_2) | instskip(NEXT) | instid1(VALU_DEP_2)
	v_sub_co_u32 v25, vcc_lo, v27, v17
	v_sub_co_ci_u32_e32 v26, vcc_lo, v28, v18, vcc_lo
	s_delay_alu instid0(VALU_DEP_1)
	v_cmp_gt_i64_e32 vcc_lo, 64, v[25:26]
	v_cmpx_lt_i64_e32 63, v[25:26]
	s_xor_b32 s20, exec_lo, s20
	s_cbranch_execnz .LBB11_27
; %bb.25:                               ;   in Loop: Header=BB11_24 Depth=2
	s_and_not1_saveexec_b32 s0, s20
	s_cbranch_execnz .LBB11_28
.LBB11_26:                              ;   in Loop: Header=BB11_24 Depth=2
	s_or_b32 exec_lo, exec_lo, s0
	s_mov_b32 s0, -1
	s_and_saveexec_b32 s20, vcc_lo
	s_cbranch_execz .LBB11_23
	s_branch .LBB11_29
.LBB11_27:                              ;   in Loop: Header=BB11_24 Depth=2
	v_cmp_lt_i64_e64 s0, v[27:28], v[19:20]
                                        ; implicit-def: $vgpr25
	s_delay_alu instid0(VALU_DEP_1)
	v_cndmask_b32_e64 v20, v20, v28, s0
	v_cndmask_b32_e64 v19, v19, v27, s0
	s_and_not1_saveexec_b32 s0, s20
	s_cbranch_execz .LBB11_26
.LBB11_28:                              ;   in Loop: Header=BB11_24 Depth=2
	global_load_b64 v[26:27], v[23:24], off
	v_lshl_add_u32 v28, v25, 3, v30
	v_add_nc_u32_e32 v25, v29, v25
	ds_load_b64 v[42:43], v28
	s_waitcnt vmcnt(0) lgkmcnt(0)
	v_fma_f64 v[26:27], v[11:12], v[26:27], v[42:43]
	ds_store_b8 v25, v41
	ds_store_b64 v28, v[26:27]
	s_or_b32 exec_lo, exec_lo, s0
	s_mov_b32 s0, -1
	s_and_saveexec_b32 s20, vcc_lo
	s_cbranch_execz .LBB11_23
.LBB11_29:                              ;   in Loop: Header=BB11_24 Depth=2
	v_add_co_u32 v13, vcc_lo, v13, 64
	v_add_co_ci_u32_e32 v14, vcc_lo, 0, v14, vcc_lo
	v_add_co_u32 v21, vcc_lo, 0x200, v21
	v_add_co_ci_u32_e32 v22, vcc_lo, 0, v22, vcc_lo
	s_delay_alu instid0(VALU_DEP_3) | instskip(SKIP_1) | instid1(VALU_DEP_1)
	v_cmp_ge_i64_e32 vcc_lo, v[13:14], v[3:4]
	v_add_co_u32 v23, s0, 0x200, v23
	v_add_co_ci_u32_e64 v24, s0, 0, v24, s0
	s_or_not1_b32 s0, vcc_lo, exec_lo
	s_branch .LBB11_23
.LBB11_30:                              ;   in Loop: Header=BB11_11 Depth=1
	s_or_b32 exec_lo, exec_lo, s17
.LBB11_31:                              ;   in Loop: Header=BB11_11 Depth=1
	s_delay_alu instid0(SALU_CYCLE_1)
	s_or_b32 exec_lo, exec_lo, s16
	s_waitcnt lgkmcnt(0)
	buffer_gl0_inv
	ds_load_u8 v21, v40
	s_mov_b32 s16, exec_lo
	s_waitcnt lgkmcnt(0)
	v_and_b32_e32 v22, 1, v21
	v_cmp_ne_u16_e32 vcc_lo, 0, v21
	s_delay_alu instid0(VALU_DEP_2)
	v_cmpx_eq_u32_e32 1, v22
	s_cbranch_execz .LBB11_10
; %bb.32:                               ;   in Loop: Header=BB11_11 Depth=1
	v_and_b32_e32 v21, vcc_lo, v15
	ds_load_b64 v[23:24], v0
	v_bcnt_u32_b32 v21, v21, 0
	s_delay_alu instid0(VALU_DEP_1) | instskip(NEXT) | instid1(VALU_DEP_1)
	v_add_co_u32 v21, s0, v31, v21
	v_add_co_ci_u32_e64 v22, s0, 0, v32, s0
	v_add_co_u32 v17, s0, v16, v17
	s_delay_alu instid0(VALU_DEP_1) | instskip(NEXT) | instid1(VALU_DEP_3)
	v_add_co_ci_u32_e64 v18, s0, v33, v18, s0
	v_lshlrev_b64 v[21:22], 3, v[21:22]
	s_delay_alu instid0(VALU_DEP_1) | instskip(NEXT) | instid1(VALU_DEP_1)
	v_add_co_u32 v25, s0, s6, v21
	v_add_co_ci_u32_e64 v26, s0, s7, v22, s0
	v_add_co_u32 v21, s0, s12, v21
	s_delay_alu instid0(VALU_DEP_1)
	v_add_co_ci_u32_e64 v22, s0, s13, v22, s0
	global_store_b64 v[25:26], v[17:18], off
	s_waitcnt lgkmcnt(0)
	global_store_b64 v[21:22], v[23:24], off
	s_branch .LBB11_10
.LBB11_33:
	s_nop 0
	s_sendmsg sendmsg(MSG_DEALLOC_VGPRS)
	s_endpgm
	.section	.rodata,"a",@progbits
	.p2align	6, 0x0
	.amdhsa_kernel _ZN9rocsparseL29csrgeam_fill_multipass_kernelILj256ELj64ElldEEvllNS_24const_host_device_scalarIT3_EEPKT1_PKT2_PKS2_S3_S6_S9_SB_S6_PS7_PS2_21rocsparse_index_base_SE_SE_bbb
		.amdhsa_group_segment_fixed_size 2304
		.amdhsa_private_segment_fixed_size 0
		.amdhsa_kernarg_size 120
		.amdhsa_user_sgpr_count 15
		.amdhsa_user_sgpr_dispatch_ptr 0
		.amdhsa_user_sgpr_queue_ptr 0
		.amdhsa_user_sgpr_kernarg_segment_ptr 1
		.amdhsa_user_sgpr_dispatch_id 0
		.amdhsa_user_sgpr_private_segment_size 0
		.amdhsa_wavefront_size32 1
		.amdhsa_uses_dynamic_stack 0
		.amdhsa_enable_private_segment 0
		.amdhsa_system_sgpr_workgroup_id_x 1
		.amdhsa_system_sgpr_workgroup_id_y 0
		.amdhsa_system_sgpr_workgroup_id_z 0
		.amdhsa_system_sgpr_workgroup_info 0
		.amdhsa_system_vgpr_workitem_id 0
		.amdhsa_next_free_vgpr 44
		.amdhsa_next_free_sgpr 24
		.amdhsa_reserve_vcc 1
		.amdhsa_float_round_mode_32 0
		.amdhsa_float_round_mode_16_64 0
		.amdhsa_float_denorm_mode_32 3
		.amdhsa_float_denorm_mode_16_64 3
		.amdhsa_dx10_clamp 1
		.amdhsa_ieee_mode 1
		.amdhsa_fp16_overflow 0
		.amdhsa_workgroup_processor_mode 1
		.amdhsa_memory_ordered 1
		.amdhsa_forward_progress 0
		.amdhsa_shared_vgpr_count 0
		.amdhsa_exception_fp_ieee_invalid_op 0
		.amdhsa_exception_fp_denorm_src 0
		.amdhsa_exception_fp_ieee_div_zero 0
		.amdhsa_exception_fp_ieee_overflow 0
		.amdhsa_exception_fp_ieee_underflow 0
		.amdhsa_exception_fp_ieee_inexact 0
		.amdhsa_exception_int_div_zero 0
	.end_amdhsa_kernel
	.section	.text._ZN9rocsparseL29csrgeam_fill_multipass_kernelILj256ELj64ElldEEvllNS_24const_host_device_scalarIT3_EEPKT1_PKT2_PKS2_S3_S6_S9_SB_S6_PS7_PS2_21rocsparse_index_base_SE_SE_bbb,"axG",@progbits,_ZN9rocsparseL29csrgeam_fill_multipass_kernelILj256ELj64ElldEEvllNS_24const_host_device_scalarIT3_EEPKT1_PKT2_PKS2_S3_S6_S9_SB_S6_PS7_PS2_21rocsparse_index_base_SE_SE_bbb,comdat
.Lfunc_end11:
	.size	_ZN9rocsparseL29csrgeam_fill_multipass_kernelILj256ELj64ElldEEvllNS_24const_host_device_scalarIT3_EEPKT1_PKT2_PKS2_S3_S6_S9_SB_S6_PS7_PS2_21rocsparse_index_base_SE_SE_bbb, .Lfunc_end11-_ZN9rocsparseL29csrgeam_fill_multipass_kernelILj256ELj64ElldEEvllNS_24const_host_device_scalarIT3_EEPKT1_PKT2_PKS2_S3_S6_S9_SB_S6_PS7_PS2_21rocsparse_index_base_SE_SE_bbb
                                        ; -- End function
	.section	.AMDGPU.csdata,"",@progbits
; Kernel info:
; codeLenInByte = 2128
; NumSgprs: 26
; NumVgprs: 44
; ScratchSize: 0
; MemoryBound: 0
; FloatMode: 240
; IeeeMode: 1
; LDSByteSize: 2304 bytes/workgroup (compile time only)
; SGPRBlocks: 3
; VGPRBlocks: 5
; NumSGPRsForWavesPerEU: 26
; NumVGPRsForWavesPerEU: 44
; Occupancy: 16
; WaveLimiterHint : 1
; COMPUTE_PGM_RSRC2:SCRATCH_EN: 0
; COMPUTE_PGM_RSRC2:USER_SGPR: 15
; COMPUTE_PGM_RSRC2:TRAP_HANDLER: 0
; COMPUTE_PGM_RSRC2:TGID_X_EN: 1
; COMPUTE_PGM_RSRC2:TGID_Y_EN: 0
; COMPUTE_PGM_RSRC2:TGID_Z_EN: 0
; COMPUTE_PGM_RSRC2:TIDIG_COMP_CNT: 0
	.section	.text._ZN9rocsparseL29csrgeam_fill_multipass_kernelILj256ELj32Eii21rocsparse_complex_numIfEEEvllNS_24const_host_device_scalarIT3_EEPKT1_PKT2_PKS4_S5_S8_SB_SD_S8_PS9_PS4_21rocsparse_index_base_SG_SG_bbb,"axG",@progbits,_ZN9rocsparseL29csrgeam_fill_multipass_kernelILj256ELj32Eii21rocsparse_complex_numIfEEEvllNS_24const_host_device_scalarIT3_EEPKT1_PKT2_PKS4_S5_S8_SB_SD_S8_PS9_PS4_21rocsparse_index_base_SG_SG_bbb,comdat
	.globl	_ZN9rocsparseL29csrgeam_fill_multipass_kernelILj256ELj32Eii21rocsparse_complex_numIfEEEvllNS_24const_host_device_scalarIT3_EEPKT1_PKT2_PKS4_S5_S8_SB_SD_S8_PS9_PS4_21rocsparse_index_base_SG_SG_bbb ; -- Begin function _ZN9rocsparseL29csrgeam_fill_multipass_kernelILj256ELj32Eii21rocsparse_complex_numIfEEEvllNS_24const_host_device_scalarIT3_EEPKT1_PKT2_PKS4_S5_S8_SB_SD_S8_PS9_PS4_21rocsparse_index_base_SG_SG_bbb
	.p2align	8
	.type	_ZN9rocsparseL29csrgeam_fill_multipass_kernelILj256ELj32Eii21rocsparse_complex_numIfEEEvllNS_24const_host_device_scalarIT3_EEPKT1_PKT2_PKS4_S5_S8_SB_SD_S8_PS9_PS4_21rocsparse_index_base_SG_SG_bbb,@function
_ZN9rocsparseL29csrgeam_fill_multipass_kernelILj256ELj32Eii21rocsparse_complex_numIfEEEvllNS_24const_host_device_scalarIT3_EEPKT1_PKT2_PKS4_S5_S8_SB_SD_S8_PS9_PS4_21rocsparse_index_base_SG_SG_bbb: ; @_ZN9rocsparseL29csrgeam_fill_multipass_kernelILj256ELj32Eii21rocsparse_complex_numIfEEEvllNS_24const_host_device_scalarIT3_EEPKT1_PKT2_PKS4_S5_S8_SB_SD_S8_PS9_PS4_21rocsparse_index_base_SG_SG_bbb
; %bb.0:
	s_clause 0x5
	s_load_b32 s13, s[0:1], 0x74
	s_load_b64 s[2:3], s[0:1], 0x60
	s_load_b128 s[36:39], s[0:1], 0x68
	s_load_b256 s[4:11], s[0:1], 0x40
	s_load_b256 s[16:23], s[0:1], 0x0
	;; [unrolled: 1-line block ×3, first 2 shown]
	s_mov_b32 s12, 0
	s_mov_b32 s1, 0
	s_waitcnt lgkmcnt(0)
	s_bitcmp1_b32 s13, 16
	s_cselect_b32 s0, -1, 0
	s_delay_alu instid0(SALU_CYCLE_1) | instskip(SKIP_2) | instid1(VALU_DEP_1)
	s_xor_b32 s0, s0, -1
	s_bitcmp0_b32 s39, 0
	v_cndmask_b32_e64 v1, 0, 1, s0
	v_cmp_ne_u32_e32 vcc_lo, 1, v1
	s_cbranch_scc1 .LBB12_6
; %bb.1:
	s_and_b32 vcc_lo, exec_lo, vcc_lo
	s_mov_b32 s1, s20
	s_cbranch_vccnz .LBB12_3
; %bb.2:
	s_load_b32 s1, s[20:21], 0x0
.LBB12_3:
	s_and_not1_b32 vcc_lo, exec_lo, s0
	s_cbranch_vccnz .LBB12_5
; %bb.4:
	s_load_b32 s21, s[20:21], 0x4
.LBB12_5:
	s_waitcnt lgkmcnt(0)
	s_mov_b32 s12, s21
.LBB12_6:
	s_bfe_u32 s0, s13, 0x10008
	s_mov_b32 s14, 0
	s_cmp_eq_u32 s0, 0
	s_mov_b32 s13, 0
	s_cbranch_scc1 .LBB12_12
; %bb.7:
	v_cmp_ne_u32_e32 vcc_lo, 1, v1
	s_mov_b32 s13, s28
	s_cbranch_vccnz .LBB12_9
; %bb.8:
	s_load_b32 s13, s[28:29], 0x0
.LBB12_9:
	v_cmp_ne_u32_e32 vcc_lo, 1, v1
	s_cbranch_vccnz .LBB12_11
; %bb.10:
	s_load_b32 s29, s[28:29], 0x4
.LBB12_11:
	s_waitcnt lgkmcnt(0)
	s_mov_b32 s14, s29
.LBB12_12:
	v_lshrrev_b32_e32 v1, 5, v0
	s_lshl_b32 s0, s15, 3
	v_mov_b32_e32 v2, 0
	s_delay_alu instid0(VALU_DEP_2) | instskip(SKIP_1) | instid1(VALU_DEP_1)
	v_and_or_b32 v1, 0x7fffff8, s0, v1
	s_mov_b32 s0, exec_lo
	v_cmpx_gt_i64_e64 s[16:17], v[1:2]
	s_cbranch_execz .LBB12_41
; %bb.13:
	v_lshlrev_b32_e32 v3, 2, v1
	s_mov_b32 s0, exec_lo
	s_clause 0x2
	global_load_b64 v[4:5], v3, s[22:23]
	global_load_b64 v[1:2], v3, s[30:31]
	global_load_b32 v8, v3, s[8:9]
	s_waitcnt vmcnt(2)
	v_cmpx_ge_i32_e64 v4, v5
	s_xor_b32 s0, exec_lo, s0
	s_delay_alu instid0(SALU_CYCLE_1)
	s_or_saveexec_b32 s0, s0
	v_subrev_nc_u32_e32 v3, s36, v4
	v_mov_b32_e32 v4, s18
	s_xor_b32 exec_lo, exec_lo, s0
	s_cbranch_execz .LBB12_15
; %bb.14:
	s_delay_alu instid0(VALU_DEP_2) | instskip(NEXT) | instid1(VALU_DEP_1)
	v_ashrrev_i32_e32 v4, 31, v3
	v_lshlrev_b64 v[6:7], 2, v[3:4]
	s_delay_alu instid0(VALU_DEP_1) | instskip(NEXT) | instid1(VALU_DEP_2)
	v_add_co_u32 v6, vcc_lo, s24, v6
	v_add_co_ci_u32_e32 v7, vcc_lo, s25, v7, vcc_lo
	global_load_b32 v4, v[6:7], off
	s_waitcnt vmcnt(0)
	v_subrev_nc_u32_e32 v4, s36, v4
.LBB12_15:
	s_or_b32 exec_lo, exec_lo, s0
	s_delay_alu instid0(SALU_CYCLE_1) | instskip(SKIP_3) | instid1(SALU_CYCLE_1)
	s_mov_b32 s0, exec_lo
	s_waitcnt vmcnt(1)
	v_cmpx_ge_i32_e64 v1, v2
	s_xor_b32 s0, exec_lo, s0
	s_or_saveexec_b32 s0, s0
	v_mov_b32_e32 v9, s18
	v_subrev_nc_u32_e32 v6, s37, v1
	v_mov_b32_e32 v1, s18
	s_xor_b32 exec_lo, exec_lo, s0
	s_cbranch_execz .LBB12_17
; %bb.16:
	s_delay_alu instid0(VALU_DEP_2) | instskip(NEXT) | instid1(VALU_DEP_1)
	v_ashrrev_i32_e32 v7, 31, v6
	v_lshlrev_b64 v[9:10], 2, v[6:7]
	s_delay_alu instid0(VALU_DEP_1) | instskip(NEXT) | instid1(VALU_DEP_2)
	v_add_co_u32 v9, vcc_lo, s4, v9
	v_add_co_ci_u32_e32 v10, vcc_lo, s5, v10, vcc_lo
	global_load_b32 v1, v[9:10], off
	v_mov_b32_e32 v9, s18
	s_waitcnt vmcnt(0)
	v_subrev_nc_u32_e32 v1, s37, v1
.LBB12_17:
	s_or_b32 exec_lo, exec_lo, s0
	v_subrev_nc_u32_e32 v10, s36, v5
	v_and_b32_e32 v5, 31, v0
	v_mbcnt_lo_u32_b32 v19, -1, 0
	v_subrev_nc_u32_e32 v13, s37, v2
	v_min_i32_e32 v4, v1, v4
	s_waitcnt vmcnt(0)
	v_subrev_nc_u32_e32 v14, s38, v8
	v_xor_b32_e32 v1, 31, v5
	v_add_nc_u32_e32 v2, v6, v5
	v_xor_b32_e32 v6, 2, v19
	v_and_b32_e32 v7, 0xe0, v0
	v_add_nc_u32_e32 v0, v3, v5
	v_lshrrev_b32_e64 v16, v1, -1
	v_xor_b32_e32 v1, 8, v19
	s_mov_b32 s8, 0
	v_or_b32_e32 v11, 0x800, v7
	v_lshlrev_b32_e32 v12, 3, v7
	v_xor_b32_e32 v7, 16, v19
	v_mov_b32_e32 v24, 1
	s_delay_alu instid0(VALU_DEP_2) | instskip(SKIP_3) | instid1(VALU_DEP_3)
	v_cmp_gt_i32_e32 vcc_lo, 32, v7
	v_cndmask_b32_e32 v3, v19, v7, vcc_lo
	v_cmp_gt_i32_e32 vcc_lo, 32, v1
	v_xor_b32_e32 v7, 1, v19
	v_dual_cndmask_b32 v1, v19, v1 :: v_dual_lshlrev_b32 v18, 2, v3
	v_xor_b32_e32 v3, 4, v19
	s_delay_alu instid0(VALU_DEP_1) | instskip(SKIP_2) | instid1(VALU_DEP_2)
	v_cmp_gt_i32_e32 vcc_lo, 32, v3
	v_cndmask_b32_e32 v3, v19, v3, vcc_lo
	v_cmp_gt_i32_e32 vcc_lo, 32, v6
	v_lshlrev_b32_e32 v20, 2, v3
	v_cndmask_b32_e32 v8, v19, v6, vcc_lo
	v_cmp_gt_i32_e32 vcc_lo, 32, v7
	v_mov_b32_e32 v6, 0
	v_lshl_or_b32 v15, v5, 3, v12
	v_add_nc_u32_e32 v17, s38, v5
	v_lshlrev_b32_e32 v21, 2, v8
	s_delay_alu instid0(VALU_DEP_4) | instskip(SKIP_2) | instid1(VALU_DEP_3)
	v_dual_cndmask_b32 v7, v19, v7 :: v_dual_mov_b32 v8, v6
	v_lshlrev_b32_e32 v19, 2, v1
	v_add_nc_u32_e32 v23, v11, v5
	v_dual_mov_b32 v7, v6 :: v_dual_lshlrev_b32 v22, 2, v7
	s_branch .LBB12_19
.LBB12_18:                              ;   in Loop: Header=BB12_19 Depth=1
	s_or_b32 exec_lo, exec_lo, s9
	ds_bpermute_b32 v1, v18, v25
	s_bcnt1_i32_b32 s9, vcc_lo
	s_delay_alu instid0(SALU_CYCLE_1)
	v_add_nc_u32_e32 v14, s9, v14
	s_waitcnt lgkmcnt(0)
	v_min_i32_e32 v1, v1, v25
	ds_bpermute_b32 v3, v19, v1
	s_waitcnt lgkmcnt(0)
	v_min_i32_e32 v1, v3, v1
	ds_bpermute_b32 v3, v20, v1
	;; [unrolled: 3-line block ×4, first 2 shown]
	s_waitcnt lgkmcnt(0)
	v_min_i32_e32 v4, v3, v1
	s_delay_alu instid0(VALU_DEP_1) | instskip(NEXT) | instid1(VALU_DEP_1)
	v_ashrrev_i32_e32 v5, 31, v4
	v_cmp_le_i64_e64 s0, s[18:19], v[4:5]
	s_delay_alu instid0(VALU_DEP_1) | instskip(NEXT) | instid1(SALU_CYCLE_1)
	s_or_b32 s8, s0, s8
	s_and_not1_b32 exec_lo, exec_lo, s8
	s_cbranch_execz .LBB12_41
.LBB12_19:                              ; =>This Loop Header: Depth=1
                                        ;     Child Loop BB12_22 Depth 2
                                        ;     Child Loop BB12_32 Depth 2
	v_mov_b32_e32 v25, v9
	s_mov_b32 s9, exec_lo
	ds_store_b8 v23, v6
	ds_store_b64 v15, v[7:8]
	s_waitcnt lgkmcnt(0)
	buffer_gl0_inv
	v_cmpx_lt_i32_e64 v0, v10
	s_cbranch_execz .LBB12_29
; %bb.20:                               ;   in Loop: Header=BB12_19 Depth=1
	v_mov_b32_e32 v25, v9
	s_mov_b32 s15, 0
	s_branch .LBB12_22
.LBB12_21:                              ;   in Loop: Header=BB12_22 Depth=2
	s_or_b32 exec_lo, exec_lo, s16
	s_delay_alu instid0(SALU_CYCLE_1) | instskip(NEXT) | instid1(SALU_CYCLE_1)
	s_and_b32 s0, exec_lo, s0
	s_or_b32 s15, s0, s15
	s_delay_alu instid0(SALU_CYCLE_1)
	s_and_not1_b32 exec_lo, exec_lo, s15
	s_cbranch_execz .LBB12_28
.LBB12_22:                              ;   Parent Loop BB12_19 Depth=1
                                        ; =>  This Inner Loop Header: Depth=2
	v_ashrrev_i32_e32 v1, 31, v0
	s_delay_alu instid0(VALU_DEP_1) | instskip(NEXT) | instid1(VALU_DEP_1)
	v_lshlrev_b64 v[26:27], 2, v[0:1]
	v_add_co_u32 v26, vcc_lo, s24, v26
	s_delay_alu instid0(VALU_DEP_2) | instskip(SKIP_3) | instid1(VALU_DEP_1)
	v_add_co_ci_u32_e32 v27, vcc_lo, s25, v27, vcc_lo
	global_load_b32 v3, v[26:27], off
	s_waitcnt vmcnt(0)
	v_subrev_nc_u32_e32 v5, s36, v3
	v_sub_nc_u32_e32 v3, v5, v4
	s_delay_alu instid0(VALU_DEP_1) | instskip(SKIP_1) | instid1(VALU_DEP_1)
	v_cmp_gt_u32_e32 vcc_lo, 32, v3
	v_cmp_lt_u32_e64 s0, 31, v3
	s_and_saveexec_b32 s16, s0
	s_delay_alu instid0(SALU_CYCLE_1)
	s_xor_b32 s0, exec_lo, s16
	s_cbranch_execnz .LBB12_25
; %bb.23:                               ;   in Loop: Header=BB12_22 Depth=2
	s_and_not1_saveexec_b32 s16, s0
	s_cbranch_execnz .LBB12_26
.LBB12_24:                              ;   in Loop: Header=BB12_22 Depth=2
	s_or_b32 exec_lo, exec_lo, s16
	s_mov_b32 s0, -1
	s_and_saveexec_b32 s16, vcc_lo
	s_cbranch_execz .LBB12_21
	s_branch .LBB12_27
.LBB12_25:                              ;   in Loop: Header=BB12_22 Depth=2
	v_min_i32_e32 v25, v5, v25
                                        ; implicit-def: $vgpr3
	s_and_not1_saveexec_b32 s16, s0
	s_cbranch_execz .LBB12_24
.LBB12_26:                              ;   in Loop: Header=BB12_22 Depth=2
	v_lshlrev_b64 v[26:27], 3, v[0:1]
	v_add_nc_u32_e32 v1, v11, v3
	v_lshl_add_u32 v3, v3, 3, v12
	s_delay_alu instid0(VALU_DEP_3) | instskip(NEXT) | instid1(VALU_DEP_1)
	v_add_co_u32 v26, s0, s26, v26
	v_add_co_ci_u32_e64 v27, s0, s27, v27, s0
	global_load_b64 v[26:27], v[26:27], off
	s_waitcnt vmcnt(0)
	v_mul_f32_e64 v28, v27, -s12
	s_delay_alu instid0(VALU_DEP_1) | instskip(NEXT) | instid1(VALU_DEP_1)
	v_dual_mul_f32 v29, s1, v27 :: v_dual_fmac_f32 v28, s1, v26
	v_fmac_f32_e32 v29, s12, v26
	ds_store_b8 v1, v24
	ds_store_b64 v3, v[28:29]
	s_or_b32 exec_lo, exec_lo, s16
	s_mov_b32 s0, -1
	s_and_saveexec_b32 s16, vcc_lo
	s_cbranch_execz .LBB12_21
.LBB12_27:                              ;   in Loop: Header=BB12_22 Depth=2
	v_add_nc_u32_e32 v0, 32, v0
	s_delay_alu instid0(VALU_DEP_1)
	v_cmp_ge_i32_e32 vcc_lo, v0, v10
	s_or_not1_b32 s0, vcc_lo, exec_lo
	s_branch .LBB12_21
.LBB12_28:                              ;   in Loop: Header=BB12_19 Depth=1
	s_or_b32 exec_lo, exec_lo, s15
.LBB12_29:                              ;   in Loop: Header=BB12_19 Depth=1
	s_delay_alu instid0(SALU_CYCLE_1) | instskip(NEXT) | instid1(SALU_CYCLE_1)
	s_or_b32 exec_lo, exec_lo, s9
	s_mov_b32 s9, exec_lo
	s_waitcnt lgkmcnt(0)
	buffer_gl0_inv
	v_cmpx_lt_i32_e64 v2, v13
	s_cbranch_execz .LBB12_39
; %bb.30:                               ;   in Loop: Header=BB12_19 Depth=1
	s_mov_b32 s15, 0
	s_branch .LBB12_32
.LBB12_31:                              ;   in Loop: Header=BB12_32 Depth=2
	s_or_b32 exec_lo, exec_lo, s16
	s_delay_alu instid0(SALU_CYCLE_1) | instskip(NEXT) | instid1(SALU_CYCLE_1)
	s_and_b32 s0, exec_lo, s0
	s_or_b32 s15, s0, s15
	s_delay_alu instid0(SALU_CYCLE_1)
	s_and_not1_b32 exec_lo, exec_lo, s15
	s_cbranch_execz .LBB12_38
.LBB12_32:                              ;   Parent Loop BB12_19 Depth=1
                                        ; =>  This Inner Loop Header: Depth=2
	v_ashrrev_i32_e32 v3, 31, v2
	s_delay_alu instid0(VALU_DEP_1) | instskip(NEXT) | instid1(VALU_DEP_1)
	v_lshlrev_b64 v[26:27], 2, v[2:3]
	v_add_co_u32 v26, vcc_lo, s4, v26
	s_delay_alu instid0(VALU_DEP_2) | instskip(SKIP_3) | instid1(VALU_DEP_1)
	v_add_co_ci_u32_e32 v27, vcc_lo, s5, v27, vcc_lo
	global_load_b32 v1, v[26:27], off
	s_waitcnt vmcnt(0)
	v_subrev_nc_u32_e32 v5, s37, v1
	v_sub_nc_u32_e32 v1, v5, v4
	s_delay_alu instid0(VALU_DEP_1) | instskip(SKIP_1) | instid1(VALU_DEP_1)
	v_cmp_gt_u32_e32 vcc_lo, 32, v1
	v_cmp_lt_u32_e64 s0, 31, v1
	s_and_saveexec_b32 s16, s0
	s_delay_alu instid0(SALU_CYCLE_1)
	s_xor_b32 s0, exec_lo, s16
	s_cbranch_execnz .LBB12_35
; %bb.33:                               ;   in Loop: Header=BB12_32 Depth=2
	s_and_not1_saveexec_b32 s16, s0
	s_cbranch_execnz .LBB12_36
.LBB12_34:                              ;   in Loop: Header=BB12_32 Depth=2
	s_or_b32 exec_lo, exec_lo, s16
	s_mov_b32 s0, -1
	s_and_saveexec_b32 s16, vcc_lo
	s_cbranch_execz .LBB12_31
	s_branch .LBB12_37
.LBB12_35:                              ;   in Loop: Header=BB12_32 Depth=2
	v_min_i32_e32 v25, v5, v25
                                        ; implicit-def: $vgpr1
	s_and_not1_saveexec_b32 s16, s0
	s_cbranch_execz .LBB12_34
.LBB12_36:                              ;   in Loop: Header=BB12_32 Depth=2
	v_lshlrev_b64 v[26:27], 3, v[2:3]
	v_lshl_add_u32 v3, v1, 3, v12
	v_add_nc_u32_e32 v1, v11, v1
	ds_load_b64 v[28:29], v3
	v_add_co_u32 v26, s0, s6, v26
	s_delay_alu instid0(VALU_DEP_1) | instskip(SKIP_4) | instid1(VALU_DEP_2)
	v_add_co_ci_u32_e64 v27, s0, s7, v27, s0
	global_load_b64 v[26:27], v[26:27], off
	s_waitcnt vmcnt(0) lgkmcnt(0)
	v_fma_f32 v5, s13, v26, v28
	v_fmac_f32_e32 v29, s14, v26
	v_fma_f32 v28, -s14, v27, v5
	s_delay_alu instid0(VALU_DEP_2)
	v_fmac_f32_e32 v29, s13, v27
	ds_store_b8 v1, v24
	ds_store_b64 v3, v[28:29]
	s_or_b32 exec_lo, exec_lo, s16
	s_mov_b32 s0, -1
	s_and_saveexec_b32 s16, vcc_lo
	s_cbranch_execz .LBB12_31
.LBB12_37:                              ;   in Loop: Header=BB12_32 Depth=2
	v_add_nc_u32_e32 v2, 32, v2
	s_delay_alu instid0(VALU_DEP_1)
	v_cmp_ge_i32_e32 vcc_lo, v2, v13
	s_or_not1_b32 s0, vcc_lo, exec_lo
	s_branch .LBB12_31
.LBB12_38:                              ;   in Loop: Header=BB12_19 Depth=1
	s_or_b32 exec_lo, exec_lo, s15
.LBB12_39:                              ;   in Loop: Header=BB12_19 Depth=1
	s_delay_alu instid0(SALU_CYCLE_1)
	s_or_b32 exec_lo, exec_lo, s9
	s_waitcnt lgkmcnt(0)
	buffer_gl0_inv
	ds_load_u8 v1, v23
	s_mov_b32 s9, exec_lo
	s_waitcnt lgkmcnt(0)
	v_and_b32_e32 v3, 1, v1
	v_cmp_ne_u16_e32 vcc_lo, 0, v1
	s_delay_alu instid0(VALU_DEP_2)
	v_cmpx_eq_u32_e32 1, v3
	s_cbranch_execz .LBB12_18
; %bb.40:                               ;   in Loop: Header=BB12_19 Depth=1
	v_and_b32_e32 v1, vcc_lo, v16
	ds_load_b64 v[26:27], v15
	v_bcnt_u32_b32 v1, v1, 0
	s_delay_alu instid0(VALU_DEP_1) | instskip(SKIP_1) | instid1(VALU_DEP_2)
	v_add3_u32 v5, v14, v1, -1
	v_add_nc_u32_e32 v1, v17, v4
	v_lshlrev_b64 v[28:29], 2, v[5:6]
	v_lshlrev_b64 v[3:4], 3, v[5:6]
	s_delay_alu instid0(VALU_DEP_2) | instskip(NEXT) | instid1(VALU_DEP_1)
	v_add_co_u32 v28, s0, s10, v28
	v_add_co_ci_u32_e64 v29, s0, s11, v29, s0
	s_delay_alu instid0(VALU_DEP_3) | instskip(NEXT) | instid1(VALU_DEP_1)
	v_add_co_u32 v3, s0, s2, v3
	v_add_co_ci_u32_e64 v4, s0, s3, v4, s0
	global_store_b32 v[28:29], v1, off
	s_waitcnt lgkmcnt(0)
	global_store_b64 v[3:4], v[26:27], off
	s_branch .LBB12_18
.LBB12_41:
	s_nop 0
	s_sendmsg sendmsg(MSG_DEALLOC_VGPRS)
	s_endpgm
	.section	.rodata,"a",@progbits
	.p2align	6, 0x0
	.amdhsa_kernel _ZN9rocsparseL29csrgeam_fill_multipass_kernelILj256ELj32Eii21rocsparse_complex_numIfEEEvllNS_24const_host_device_scalarIT3_EEPKT1_PKT2_PKS4_S5_S8_SB_SD_S8_PS9_PS4_21rocsparse_index_base_SG_SG_bbb
		.amdhsa_group_segment_fixed_size 2304
		.amdhsa_private_segment_fixed_size 0
		.amdhsa_kernarg_size 120
		.amdhsa_user_sgpr_count 15
		.amdhsa_user_sgpr_dispatch_ptr 0
		.amdhsa_user_sgpr_queue_ptr 0
		.amdhsa_user_sgpr_kernarg_segment_ptr 1
		.amdhsa_user_sgpr_dispatch_id 0
		.amdhsa_user_sgpr_private_segment_size 0
		.amdhsa_wavefront_size32 1
		.amdhsa_uses_dynamic_stack 0
		.amdhsa_enable_private_segment 0
		.amdhsa_system_sgpr_workgroup_id_x 1
		.amdhsa_system_sgpr_workgroup_id_y 0
		.amdhsa_system_sgpr_workgroup_id_z 0
		.amdhsa_system_sgpr_workgroup_info 0
		.amdhsa_system_vgpr_workitem_id 0
		.amdhsa_next_free_vgpr 30
		.amdhsa_next_free_sgpr 40
		.amdhsa_reserve_vcc 1
		.amdhsa_float_round_mode_32 0
		.amdhsa_float_round_mode_16_64 0
		.amdhsa_float_denorm_mode_32 3
		.amdhsa_float_denorm_mode_16_64 3
		.amdhsa_dx10_clamp 1
		.amdhsa_ieee_mode 1
		.amdhsa_fp16_overflow 0
		.amdhsa_workgroup_processor_mode 1
		.amdhsa_memory_ordered 1
		.amdhsa_forward_progress 0
		.amdhsa_shared_vgpr_count 0
		.amdhsa_exception_fp_ieee_invalid_op 0
		.amdhsa_exception_fp_denorm_src 0
		.amdhsa_exception_fp_ieee_div_zero 0
		.amdhsa_exception_fp_ieee_overflow 0
		.amdhsa_exception_fp_ieee_underflow 0
		.amdhsa_exception_fp_ieee_inexact 0
		.amdhsa_exception_int_div_zero 0
	.end_amdhsa_kernel
	.section	.text._ZN9rocsparseL29csrgeam_fill_multipass_kernelILj256ELj32Eii21rocsparse_complex_numIfEEEvllNS_24const_host_device_scalarIT3_EEPKT1_PKT2_PKS4_S5_S8_SB_SD_S8_PS9_PS4_21rocsparse_index_base_SG_SG_bbb,"axG",@progbits,_ZN9rocsparseL29csrgeam_fill_multipass_kernelILj256ELj32Eii21rocsparse_complex_numIfEEEvllNS_24const_host_device_scalarIT3_EEPKT1_PKT2_PKS4_S5_S8_SB_SD_S8_PS9_PS4_21rocsparse_index_base_SG_SG_bbb,comdat
.Lfunc_end12:
	.size	_ZN9rocsparseL29csrgeam_fill_multipass_kernelILj256ELj32Eii21rocsparse_complex_numIfEEEvllNS_24const_host_device_scalarIT3_EEPKT1_PKT2_PKS4_S5_S8_SB_SD_S8_PS9_PS4_21rocsparse_index_base_SG_SG_bbb, .Lfunc_end12-_ZN9rocsparseL29csrgeam_fill_multipass_kernelILj256ELj32Eii21rocsparse_complex_numIfEEEvllNS_24const_host_device_scalarIT3_EEPKT1_PKT2_PKS4_S5_S8_SB_SD_S8_PS9_PS4_21rocsparse_index_base_SG_SG_bbb
                                        ; -- End function
	.section	.AMDGPU.csdata,"",@progbits
; Kernel info:
; codeLenInByte = 1688
; NumSgprs: 42
; NumVgprs: 30
; ScratchSize: 0
; MemoryBound: 0
; FloatMode: 240
; IeeeMode: 1
; LDSByteSize: 2304 bytes/workgroup (compile time only)
; SGPRBlocks: 5
; VGPRBlocks: 3
; NumSGPRsForWavesPerEU: 42
; NumVGPRsForWavesPerEU: 30
; Occupancy: 16
; WaveLimiterHint : 1
; COMPUTE_PGM_RSRC2:SCRATCH_EN: 0
; COMPUTE_PGM_RSRC2:USER_SGPR: 15
; COMPUTE_PGM_RSRC2:TRAP_HANDLER: 0
; COMPUTE_PGM_RSRC2:TGID_X_EN: 1
; COMPUTE_PGM_RSRC2:TGID_Y_EN: 0
; COMPUTE_PGM_RSRC2:TGID_Z_EN: 0
; COMPUTE_PGM_RSRC2:TIDIG_COMP_CNT: 0
	.section	.text._ZN9rocsparseL29csrgeam_fill_multipass_kernelILj256ELj64Eii21rocsparse_complex_numIfEEEvllNS_24const_host_device_scalarIT3_EEPKT1_PKT2_PKS4_S5_S8_SB_SD_S8_PS9_PS4_21rocsparse_index_base_SG_SG_bbb,"axG",@progbits,_ZN9rocsparseL29csrgeam_fill_multipass_kernelILj256ELj64Eii21rocsparse_complex_numIfEEEvllNS_24const_host_device_scalarIT3_EEPKT1_PKT2_PKS4_S5_S8_SB_SD_S8_PS9_PS4_21rocsparse_index_base_SG_SG_bbb,comdat
	.globl	_ZN9rocsparseL29csrgeam_fill_multipass_kernelILj256ELj64Eii21rocsparse_complex_numIfEEEvllNS_24const_host_device_scalarIT3_EEPKT1_PKT2_PKS4_S5_S8_SB_SD_S8_PS9_PS4_21rocsparse_index_base_SG_SG_bbb ; -- Begin function _ZN9rocsparseL29csrgeam_fill_multipass_kernelILj256ELj64Eii21rocsparse_complex_numIfEEEvllNS_24const_host_device_scalarIT3_EEPKT1_PKT2_PKS4_S5_S8_SB_SD_S8_PS9_PS4_21rocsparse_index_base_SG_SG_bbb
	.p2align	8
	.type	_ZN9rocsparseL29csrgeam_fill_multipass_kernelILj256ELj64Eii21rocsparse_complex_numIfEEEvllNS_24const_host_device_scalarIT3_EEPKT1_PKT2_PKS4_S5_S8_SB_SD_S8_PS9_PS4_21rocsparse_index_base_SG_SG_bbb,@function
_ZN9rocsparseL29csrgeam_fill_multipass_kernelILj256ELj64Eii21rocsparse_complex_numIfEEEvllNS_24const_host_device_scalarIT3_EEPKT1_PKT2_PKS4_S5_S8_SB_SD_S8_PS9_PS4_21rocsparse_index_base_SG_SG_bbb: ; @_ZN9rocsparseL29csrgeam_fill_multipass_kernelILj256ELj64Eii21rocsparse_complex_numIfEEEvllNS_24const_host_device_scalarIT3_EEPKT1_PKT2_PKS4_S5_S8_SB_SD_S8_PS9_PS4_21rocsparse_index_base_SG_SG_bbb
; %bb.0:
	s_clause 0x5
	s_load_b32 s13, s[0:1], 0x74
	s_load_b64 s[2:3], s[0:1], 0x60
	s_load_b128 s[36:39], s[0:1], 0x68
	s_load_b256 s[4:11], s[0:1], 0x40
	s_load_b256 s[16:23], s[0:1], 0x0
	;; [unrolled: 1-line block ×3, first 2 shown]
	s_mov_b32 s12, 0
	s_mov_b32 s1, 0
	s_waitcnt lgkmcnt(0)
	s_bitcmp1_b32 s13, 16
	s_cselect_b32 s0, -1, 0
	s_delay_alu instid0(SALU_CYCLE_1) | instskip(SKIP_2) | instid1(VALU_DEP_1)
	s_xor_b32 s0, s0, -1
	s_bitcmp0_b32 s39, 0
	v_cndmask_b32_e64 v1, 0, 1, s0
	v_cmp_ne_u32_e32 vcc_lo, 1, v1
	s_cbranch_scc1 .LBB13_6
; %bb.1:
	s_and_b32 vcc_lo, exec_lo, vcc_lo
	s_mov_b32 s1, s20
	s_cbranch_vccnz .LBB13_3
; %bb.2:
	s_load_b32 s1, s[20:21], 0x0
.LBB13_3:
	s_and_not1_b32 vcc_lo, exec_lo, s0
	s_cbranch_vccnz .LBB13_5
; %bb.4:
	s_load_b32 s21, s[20:21], 0x4
.LBB13_5:
	s_waitcnt lgkmcnt(0)
	s_mov_b32 s12, s21
.LBB13_6:
	s_bfe_u32 s0, s13, 0x10008
	s_mov_b32 s14, 0
	s_cmp_eq_u32 s0, 0
	s_mov_b32 s13, 0
	s_cbranch_scc1 .LBB13_12
; %bb.7:
	v_cmp_ne_u32_e32 vcc_lo, 1, v1
	s_mov_b32 s13, s28
	s_cbranch_vccnz .LBB13_9
; %bb.8:
	s_load_b32 s13, s[28:29], 0x0
.LBB13_9:
	v_cmp_ne_u32_e32 vcc_lo, 1, v1
	s_cbranch_vccnz .LBB13_11
; %bb.10:
	s_load_b32 s29, s[28:29], 0x4
.LBB13_11:
	s_waitcnt lgkmcnt(0)
	s_mov_b32 s14, s29
.LBB13_12:
	v_lshrrev_b32_e32 v1, 6, v0
	s_lshl_b32 s0, s15, 2
	v_mov_b32_e32 v2, 0
	s_delay_alu instid0(VALU_DEP_2) | instskip(SKIP_1) | instid1(VALU_DEP_1)
	v_and_or_b32 v1, 0x3fffffc, s0, v1
	s_mov_b32 s0, exec_lo
	v_cmpx_gt_i64_e64 s[16:17], v[1:2]
	s_cbranch_execz .LBB13_41
; %bb.13:
	v_lshlrev_b32_e32 v5, 2, v1
	s_mov_b32 s0, exec_lo
	s_clause 0x2
	global_load_b64 v[3:4], v5, s[22:23]
	global_load_b64 v[1:2], v5, s[30:31]
	global_load_b32 v9, v5, s[8:9]
	s_waitcnt vmcnt(2)
	v_cmpx_ge_i32_e64 v3, v4
	s_xor_b32 s0, exec_lo, s0
	s_delay_alu instid0(SALU_CYCLE_1)
	s_or_saveexec_b32 s0, s0
	v_subrev_nc_u32_e32 v5, s36, v3
	v_mov_b32_e32 v3, s18
	s_xor_b32 exec_lo, exec_lo, s0
	s_cbranch_execz .LBB13_15
; %bb.14:
	s_delay_alu instid0(VALU_DEP_2) | instskip(NEXT) | instid1(VALU_DEP_1)
	v_ashrrev_i32_e32 v6, 31, v5
	v_lshlrev_b64 v[6:7], 2, v[5:6]
	s_delay_alu instid0(VALU_DEP_1) | instskip(NEXT) | instid1(VALU_DEP_2)
	v_add_co_u32 v6, vcc_lo, s24, v6
	v_add_co_ci_u32_e32 v7, vcc_lo, s25, v7, vcc_lo
	global_load_b32 v3, v[6:7], off
	s_waitcnt vmcnt(0)
	v_subrev_nc_u32_e32 v3, s36, v3
.LBB13_15:
	s_or_b32 exec_lo, exec_lo, s0
	s_delay_alu instid0(SALU_CYCLE_1) | instskip(SKIP_3) | instid1(SALU_CYCLE_1)
	s_mov_b32 s0, exec_lo
	s_waitcnt vmcnt(1)
	v_cmpx_ge_i32_e64 v1, v2
	s_xor_b32 s0, exec_lo, s0
	s_or_saveexec_b32 s0, s0
	v_mov_b32_e32 v11, s18
	v_subrev_nc_u32_e32 v7, s37, v1
	v_mov_b32_e32 v1, s18
	s_xor_b32 exec_lo, exec_lo, s0
	s_cbranch_execz .LBB13_17
; %bb.16:
	s_delay_alu instid0(VALU_DEP_2) | instskip(NEXT) | instid1(VALU_DEP_1)
	v_ashrrev_i32_e32 v8, 31, v7
	v_lshlrev_b64 v[10:11], 2, v[7:8]
	s_delay_alu instid0(VALU_DEP_1) | instskip(NEXT) | instid1(VALU_DEP_2)
	v_add_co_u32 v10, vcc_lo, s4, v10
	v_add_co_ci_u32_e32 v11, vcc_lo, s5, v11, vcc_lo
	global_load_b32 v1, v[10:11], off
	v_mov_b32_e32 v11, s18
	s_waitcnt vmcnt(0)
	v_subrev_nc_u32_e32 v1, s37, v1
.LBB13_17:
	s_or_b32 exec_lo, exec_lo, s0
	v_mbcnt_lo_u32_b32 v8, -1, 0
	v_and_b32_e32 v6, 0xc0, v0
	v_subrev_nc_u32_e32 v15, s37, v2
	s_waitcnt vmcnt(0)
	v_subrev_nc_u32_e32 v16, s38, v9
	v_subrev_nc_u32_e32 v12, s36, v4
	v_xor_b32_e32 v9, 1, v8
	v_or_b32_e32 v13, 0x800, v6
	v_lshlrev_b32_e32 v14, 3, v6
	v_min_i32_e32 v6, v1, v3
	v_or_b32_e32 v1, 32, v8
	v_xor_b32_e32 v3, 16, v8
	s_mov_b32 s8, 0
	v_mov_b32_e32 v25, 1
	s_delay_alu instid0(VALU_DEP_3) | instskip(SKIP_3) | instid1(VALU_DEP_3)
	v_cmp_gt_i32_e32 vcc_lo, 32, v1
	v_cndmask_b32_e32 v1, v8, v1, vcc_lo
	v_cmp_gt_i32_e32 vcc_lo, 32, v3
	v_and_b32_e32 v10, 63, v0
	v_dual_cndmask_b32 v3, v8, v3 :: v_dual_lshlrev_b32 v18, 2, v1
	v_xor_b32_e32 v1, 4, v8
	s_delay_alu instid0(VALU_DEP_3) | instskip(SKIP_1) | instid1(VALU_DEP_4)
	v_xor_b32_e32 v4, 63, v10
	v_add_nc_u32_e32 v24, v13, v10
	v_lshlrev_b32_e32 v19, 2, v3
	v_xor_b32_e32 v3, 2, v8
	v_add_nc_u32_e32 v2, v7, v10
	v_xor_b32_e32 v7, 8, v8
	s_delay_alu instid0(VALU_DEP_1)
	v_cmp_gt_i32_e32 vcc_lo, 32, v7
	v_cndmask_b32_e32 v7, v8, v7, vcc_lo
	v_cmp_gt_i32_e32 vcc_lo, 32, v1
	v_add_nc_u32_e32 v0, v5, v10
	v_lshrrev_b64 v[4:5], v4, -1
	v_add_nc_u32_e32 v5, s38, v10
	v_lshl_or_b32 v17, v10, 3, v14
	v_cndmask_b32_e32 v1, v8, v1, vcc_lo
	v_cmp_gt_i32_e32 vcc_lo, 32, v3
	v_lshlrev_b32_e32 v20, 2, v7
	s_delay_alu instid0(VALU_DEP_3) | instskip(SKIP_2) | instid1(VALU_DEP_2)
	v_lshlrev_b32_e32 v21, 2, v1
	v_cndmask_b32_e32 v3, v8, v3, vcc_lo
	v_cmp_gt_i32_e32 vcc_lo, 32, v9
	v_dual_cndmask_b32 v9, v8, v9 :: v_dual_lshlrev_b32 v22, 2, v3
	s_delay_alu instid0(VALU_DEP_1) | instskip(NEXT) | instid1(VALU_DEP_1)
	v_dual_mov_b32 v8, 0 :: v_dual_lshlrev_b32 v23, 2, v9
	v_mov_b32_e32 v9, v8
	v_mov_b32_e32 v10, v8
	s_branch .LBB13_19
.LBB13_18:                              ;   in Loop: Header=BB13_19 Depth=1
	s_or_b32 exec_lo, exec_lo, s9
	ds_bpermute_b32 v1, v18, v26
	s_bcnt1_i32_b32 s9, vcc_lo
	s_delay_alu instid0(SALU_CYCLE_1)
	v_add_nc_u32_e32 v16, s9, v16
	s_waitcnt lgkmcnt(0)
	v_min_i32_e32 v1, v1, v26
	ds_bpermute_b32 v3, v19, v1
	s_waitcnt lgkmcnt(0)
	v_min_i32_e32 v1, v3, v1
	ds_bpermute_b32 v3, v20, v1
	;; [unrolled: 3-line block ×5, first 2 shown]
	s_waitcnt lgkmcnt(0)
	v_min_i32_e32 v6, v3, v1
	s_delay_alu instid0(VALU_DEP_1) | instskip(NEXT) | instid1(VALU_DEP_1)
	v_ashrrev_i32_e32 v7, 31, v6
	v_cmp_le_i64_e64 s0, s[18:19], v[6:7]
	s_delay_alu instid0(VALU_DEP_1) | instskip(NEXT) | instid1(SALU_CYCLE_1)
	s_or_b32 s8, s0, s8
	s_and_not1_b32 exec_lo, exec_lo, s8
	s_cbranch_execz .LBB13_41
.LBB13_19:                              ; =>This Loop Header: Depth=1
                                        ;     Child Loop BB13_22 Depth 2
                                        ;     Child Loop BB13_32 Depth 2
	v_mov_b32_e32 v26, v11
	s_mov_b32 s9, exec_lo
	ds_store_b8 v24, v8
	ds_store_b64 v17, v[9:10]
	s_waitcnt lgkmcnt(0)
	buffer_gl0_inv
	v_cmpx_lt_i32_e64 v0, v12
	s_cbranch_execz .LBB13_29
; %bb.20:                               ;   in Loop: Header=BB13_19 Depth=1
	v_mov_b32_e32 v26, v11
	s_mov_b32 s15, 0
	s_branch .LBB13_22
.LBB13_21:                              ;   in Loop: Header=BB13_22 Depth=2
	s_or_b32 exec_lo, exec_lo, s16
	s_delay_alu instid0(SALU_CYCLE_1) | instskip(NEXT) | instid1(SALU_CYCLE_1)
	s_and_b32 s0, exec_lo, s0
	s_or_b32 s15, s0, s15
	s_delay_alu instid0(SALU_CYCLE_1)
	s_and_not1_b32 exec_lo, exec_lo, s15
	s_cbranch_execz .LBB13_28
.LBB13_22:                              ;   Parent Loop BB13_19 Depth=1
                                        ; =>  This Inner Loop Header: Depth=2
	v_ashrrev_i32_e32 v1, 31, v0
	s_delay_alu instid0(VALU_DEP_1) | instskip(NEXT) | instid1(VALU_DEP_1)
	v_lshlrev_b64 v[27:28], 2, v[0:1]
	v_add_co_u32 v27, vcc_lo, s24, v27
	s_delay_alu instid0(VALU_DEP_2) | instskip(SKIP_3) | instid1(VALU_DEP_1)
	v_add_co_ci_u32_e32 v28, vcc_lo, s25, v28, vcc_lo
	global_load_b32 v3, v[27:28], off
	s_waitcnt vmcnt(0)
	v_subrev_nc_u32_e32 v7, s36, v3
	v_sub_nc_u32_e32 v3, v7, v6
	s_delay_alu instid0(VALU_DEP_1) | instskip(SKIP_1) | instid1(VALU_DEP_1)
	v_cmp_gt_u32_e32 vcc_lo, 64, v3
	v_cmp_lt_u32_e64 s0, 63, v3
	s_and_saveexec_b32 s16, s0
	s_delay_alu instid0(SALU_CYCLE_1)
	s_xor_b32 s0, exec_lo, s16
	s_cbranch_execnz .LBB13_25
; %bb.23:                               ;   in Loop: Header=BB13_22 Depth=2
	s_and_not1_saveexec_b32 s16, s0
	s_cbranch_execnz .LBB13_26
.LBB13_24:                              ;   in Loop: Header=BB13_22 Depth=2
	s_or_b32 exec_lo, exec_lo, s16
	s_mov_b32 s0, -1
	s_and_saveexec_b32 s16, vcc_lo
	s_cbranch_execz .LBB13_21
	s_branch .LBB13_27
.LBB13_25:                              ;   in Loop: Header=BB13_22 Depth=2
	v_min_i32_e32 v26, v7, v26
                                        ; implicit-def: $vgpr3
	s_and_not1_saveexec_b32 s16, s0
	s_cbranch_execz .LBB13_24
.LBB13_26:                              ;   in Loop: Header=BB13_22 Depth=2
	v_lshlrev_b64 v[27:28], 3, v[0:1]
	v_add_nc_u32_e32 v1, v13, v3
	v_lshl_add_u32 v3, v3, 3, v14
	s_delay_alu instid0(VALU_DEP_3) | instskip(NEXT) | instid1(VALU_DEP_1)
	v_add_co_u32 v27, s0, s26, v27
	v_add_co_ci_u32_e64 v28, s0, s27, v28, s0
	global_load_b64 v[27:28], v[27:28], off
	s_waitcnt vmcnt(0)
	v_mul_f32_e64 v29, v28, -s12
	s_delay_alu instid0(VALU_DEP_1) | instskip(NEXT) | instid1(VALU_DEP_1)
	v_dual_mul_f32 v30, s1, v28 :: v_dual_fmac_f32 v29, s1, v27
	v_fmac_f32_e32 v30, s12, v27
	ds_store_b8 v1, v25
	ds_store_b64 v3, v[29:30]
	s_or_b32 exec_lo, exec_lo, s16
	s_mov_b32 s0, -1
	s_and_saveexec_b32 s16, vcc_lo
	s_cbranch_execz .LBB13_21
.LBB13_27:                              ;   in Loop: Header=BB13_22 Depth=2
	v_add_nc_u32_e32 v0, 64, v0
	s_delay_alu instid0(VALU_DEP_1)
	v_cmp_ge_i32_e32 vcc_lo, v0, v12
	s_or_not1_b32 s0, vcc_lo, exec_lo
	s_branch .LBB13_21
.LBB13_28:                              ;   in Loop: Header=BB13_19 Depth=1
	s_or_b32 exec_lo, exec_lo, s15
.LBB13_29:                              ;   in Loop: Header=BB13_19 Depth=1
	s_delay_alu instid0(SALU_CYCLE_1) | instskip(NEXT) | instid1(SALU_CYCLE_1)
	s_or_b32 exec_lo, exec_lo, s9
	s_mov_b32 s9, exec_lo
	s_waitcnt lgkmcnt(0)
	buffer_gl0_inv
	v_cmpx_lt_i32_e64 v2, v15
	s_cbranch_execz .LBB13_39
; %bb.30:                               ;   in Loop: Header=BB13_19 Depth=1
	s_mov_b32 s15, 0
	s_branch .LBB13_32
.LBB13_31:                              ;   in Loop: Header=BB13_32 Depth=2
	s_or_b32 exec_lo, exec_lo, s16
	s_delay_alu instid0(SALU_CYCLE_1) | instskip(NEXT) | instid1(SALU_CYCLE_1)
	s_and_b32 s0, exec_lo, s0
	s_or_b32 s15, s0, s15
	s_delay_alu instid0(SALU_CYCLE_1)
	s_and_not1_b32 exec_lo, exec_lo, s15
	s_cbranch_execz .LBB13_38
.LBB13_32:                              ;   Parent Loop BB13_19 Depth=1
                                        ; =>  This Inner Loop Header: Depth=2
	v_ashrrev_i32_e32 v3, 31, v2
	s_delay_alu instid0(VALU_DEP_1) | instskip(NEXT) | instid1(VALU_DEP_1)
	v_lshlrev_b64 v[27:28], 2, v[2:3]
	v_add_co_u32 v27, vcc_lo, s4, v27
	s_delay_alu instid0(VALU_DEP_2) | instskip(SKIP_3) | instid1(VALU_DEP_1)
	v_add_co_ci_u32_e32 v28, vcc_lo, s5, v28, vcc_lo
	global_load_b32 v1, v[27:28], off
	s_waitcnt vmcnt(0)
	v_subrev_nc_u32_e32 v7, s37, v1
	v_sub_nc_u32_e32 v1, v7, v6
	s_delay_alu instid0(VALU_DEP_1) | instskip(SKIP_1) | instid1(VALU_DEP_1)
	v_cmp_gt_u32_e32 vcc_lo, 64, v1
	v_cmp_lt_u32_e64 s0, 63, v1
	s_and_saveexec_b32 s16, s0
	s_delay_alu instid0(SALU_CYCLE_1)
	s_xor_b32 s0, exec_lo, s16
	s_cbranch_execnz .LBB13_35
; %bb.33:                               ;   in Loop: Header=BB13_32 Depth=2
	s_and_not1_saveexec_b32 s16, s0
	s_cbranch_execnz .LBB13_36
.LBB13_34:                              ;   in Loop: Header=BB13_32 Depth=2
	s_or_b32 exec_lo, exec_lo, s16
	s_mov_b32 s0, -1
	s_and_saveexec_b32 s16, vcc_lo
	s_cbranch_execz .LBB13_31
	s_branch .LBB13_37
.LBB13_35:                              ;   in Loop: Header=BB13_32 Depth=2
	v_min_i32_e32 v26, v7, v26
                                        ; implicit-def: $vgpr1
	s_and_not1_saveexec_b32 s16, s0
	s_cbranch_execz .LBB13_34
.LBB13_36:                              ;   in Loop: Header=BB13_32 Depth=2
	v_lshlrev_b64 v[27:28], 3, v[2:3]
	v_lshl_add_u32 v3, v1, 3, v14
	v_add_nc_u32_e32 v1, v13, v1
	s_delay_alu instid0(VALU_DEP_3) | instskip(NEXT) | instid1(VALU_DEP_1)
	v_add_co_u32 v27, s0, s6, v27
	v_add_co_ci_u32_e64 v28, s0, s7, v28, s0
	ds_load_b64 v[29:30], v3
	global_load_b64 v[27:28], v[27:28], off
	s_waitcnt vmcnt(0) lgkmcnt(0)
	v_fma_f32 v7, s13, v27, v29
	v_fmac_f32_e32 v30, s14, v27
	s_delay_alu instid0(VALU_DEP_2) | instskip(NEXT) | instid1(VALU_DEP_2)
	v_fma_f32 v29, -s14, v28, v7
	v_fmac_f32_e32 v30, s13, v28
	ds_store_b8 v1, v25
	ds_store_b64 v3, v[29:30]
	s_or_b32 exec_lo, exec_lo, s16
	s_mov_b32 s0, -1
	s_and_saveexec_b32 s16, vcc_lo
	s_cbranch_execz .LBB13_31
.LBB13_37:                              ;   in Loop: Header=BB13_32 Depth=2
	v_add_nc_u32_e32 v2, 64, v2
	s_delay_alu instid0(VALU_DEP_1)
	v_cmp_ge_i32_e32 vcc_lo, v2, v15
	s_or_not1_b32 s0, vcc_lo, exec_lo
	s_branch .LBB13_31
.LBB13_38:                              ;   in Loop: Header=BB13_19 Depth=1
	s_or_b32 exec_lo, exec_lo, s15
.LBB13_39:                              ;   in Loop: Header=BB13_19 Depth=1
	s_delay_alu instid0(SALU_CYCLE_1)
	s_or_b32 exec_lo, exec_lo, s9
	s_waitcnt lgkmcnt(0)
	buffer_gl0_inv
	ds_load_u8 v1, v24
	s_mov_b32 s9, exec_lo
	s_waitcnt lgkmcnt(0)
	v_and_b32_e32 v3, 1, v1
	v_cmp_ne_u16_e32 vcc_lo, 0, v1
	s_delay_alu instid0(VALU_DEP_2)
	v_cmpx_eq_u32_e32 1, v3
	s_cbranch_execz .LBB13_18
; %bb.40:                               ;   in Loop: Header=BB13_19 Depth=1
	v_and_b32_e32 v1, vcc_lo, v4
	ds_load_b64 v[27:28], v17
	v_bcnt_u32_b32 v1, v1, 0
	s_delay_alu instid0(VALU_DEP_1) | instskip(SKIP_1) | instid1(VALU_DEP_2)
	v_add3_u32 v7, v16, v1, -1
	v_add_nc_u32_e32 v1, v5, v6
	v_lshlrev_b64 v[29:30], 2, v[7:8]
	v_lshlrev_b64 v[6:7], 3, v[7:8]
	s_delay_alu instid0(VALU_DEP_2) | instskip(NEXT) | instid1(VALU_DEP_1)
	v_add_co_u32 v29, s0, s10, v29
	v_add_co_ci_u32_e64 v30, s0, s11, v30, s0
	s_delay_alu instid0(VALU_DEP_3) | instskip(NEXT) | instid1(VALU_DEP_1)
	v_add_co_u32 v6, s0, s2, v6
	v_add_co_ci_u32_e64 v7, s0, s3, v7, s0
	global_store_b32 v[29:30], v1, off
	s_waitcnt lgkmcnt(0)
	global_store_b64 v[6:7], v[27:28], off
	s_branch .LBB13_18
.LBB13_41:
	s_nop 0
	s_sendmsg sendmsg(MSG_DEALLOC_VGPRS)
	s_endpgm
	.section	.rodata,"a",@progbits
	.p2align	6, 0x0
	.amdhsa_kernel _ZN9rocsparseL29csrgeam_fill_multipass_kernelILj256ELj64Eii21rocsparse_complex_numIfEEEvllNS_24const_host_device_scalarIT3_EEPKT1_PKT2_PKS4_S5_S8_SB_SD_S8_PS9_PS4_21rocsparse_index_base_SG_SG_bbb
		.amdhsa_group_segment_fixed_size 2304
		.amdhsa_private_segment_fixed_size 0
		.amdhsa_kernarg_size 120
		.amdhsa_user_sgpr_count 15
		.amdhsa_user_sgpr_dispatch_ptr 0
		.amdhsa_user_sgpr_queue_ptr 0
		.amdhsa_user_sgpr_kernarg_segment_ptr 1
		.amdhsa_user_sgpr_dispatch_id 0
		.amdhsa_user_sgpr_private_segment_size 0
		.amdhsa_wavefront_size32 1
		.amdhsa_uses_dynamic_stack 0
		.amdhsa_enable_private_segment 0
		.amdhsa_system_sgpr_workgroup_id_x 1
		.amdhsa_system_sgpr_workgroup_id_y 0
		.amdhsa_system_sgpr_workgroup_id_z 0
		.amdhsa_system_sgpr_workgroup_info 0
		.amdhsa_system_vgpr_workitem_id 0
		.amdhsa_next_free_vgpr 31
		.amdhsa_next_free_sgpr 40
		.amdhsa_reserve_vcc 1
		.amdhsa_float_round_mode_32 0
		.amdhsa_float_round_mode_16_64 0
		.amdhsa_float_denorm_mode_32 3
		.amdhsa_float_denorm_mode_16_64 3
		.amdhsa_dx10_clamp 1
		.amdhsa_ieee_mode 1
		.amdhsa_fp16_overflow 0
		.amdhsa_workgroup_processor_mode 1
		.amdhsa_memory_ordered 1
		.amdhsa_forward_progress 0
		.amdhsa_shared_vgpr_count 0
		.amdhsa_exception_fp_ieee_invalid_op 0
		.amdhsa_exception_fp_denorm_src 0
		.amdhsa_exception_fp_ieee_div_zero 0
		.amdhsa_exception_fp_ieee_overflow 0
		.amdhsa_exception_fp_ieee_underflow 0
		.amdhsa_exception_fp_ieee_inexact 0
		.amdhsa_exception_int_div_zero 0
	.end_amdhsa_kernel
	.section	.text._ZN9rocsparseL29csrgeam_fill_multipass_kernelILj256ELj64Eii21rocsparse_complex_numIfEEEvllNS_24const_host_device_scalarIT3_EEPKT1_PKT2_PKS4_S5_S8_SB_SD_S8_PS9_PS4_21rocsparse_index_base_SG_SG_bbb,"axG",@progbits,_ZN9rocsparseL29csrgeam_fill_multipass_kernelILj256ELj64Eii21rocsparse_complex_numIfEEEvllNS_24const_host_device_scalarIT3_EEPKT1_PKT2_PKS4_S5_S8_SB_SD_S8_PS9_PS4_21rocsparse_index_base_SG_SG_bbb,comdat
.Lfunc_end13:
	.size	_ZN9rocsparseL29csrgeam_fill_multipass_kernelILj256ELj64Eii21rocsparse_complex_numIfEEEvllNS_24const_host_device_scalarIT3_EEPKT1_PKT2_PKS4_S5_S8_SB_SD_S8_PS9_PS4_21rocsparse_index_base_SG_SG_bbb, .Lfunc_end13-_ZN9rocsparseL29csrgeam_fill_multipass_kernelILj256ELj64Eii21rocsparse_complex_numIfEEEvllNS_24const_host_device_scalarIT3_EEPKT1_PKT2_PKS4_S5_S8_SB_SD_S8_PS9_PS4_21rocsparse_index_base_SG_SG_bbb
                                        ; -- End function
	.section	.AMDGPU.csdata,"",@progbits
; Kernel info:
; codeLenInByte = 1728
; NumSgprs: 42
; NumVgprs: 31
; ScratchSize: 0
; MemoryBound: 0
; FloatMode: 240
; IeeeMode: 1
; LDSByteSize: 2304 bytes/workgroup (compile time only)
; SGPRBlocks: 5
; VGPRBlocks: 3
; NumSGPRsForWavesPerEU: 42
; NumVGPRsForWavesPerEU: 31
; Occupancy: 16
; WaveLimiterHint : 1
; COMPUTE_PGM_RSRC2:SCRATCH_EN: 0
; COMPUTE_PGM_RSRC2:USER_SGPR: 15
; COMPUTE_PGM_RSRC2:TRAP_HANDLER: 0
; COMPUTE_PGM_RSRC2:TGID_X_EN: 1
; COMPUTE_PGM_RSRC2:TGID_Y_EN: 0
; COMPUTE_PGM_RSRC2:TGID_Z_EN: 0
; COMPUTE_PGM_RSRC2:TIDIG_COMP_CNT: 0
	.section	.text._ZN9rocsparseL29csrgeam_fill_multipass_kernelILj256ELj32Eli21rocsparse_complex_numIfEEEvllNS_24const_host_device_scalarIT3_EEPKT1_PKT2_PKS4_S5_S8_SB_SD_S8_PS9_PS4_21rocsparse_index_base_SG_SG_bbb,"axG",@progbits,_ZN9rocsparseL29csrgeam_fill_multipass_kernelILj256ELj32Eli21rocsparse_complex_numIfEEEvllNS_24const_host_device_scalarIT3_EEPKT1_PKT2_PKS4_S5_S8_SB_SD_S8_PS9_PS4_21rocsparse_index_base_SG_SG_bbb,comdat
	.globl	_ZN9rocsparseL29csrgeam_fill_multipass_kernelILj256ELj32Eli21rocsparse_complex_numIfEEEvllNS_24const_host_device_scalarIT3_EEPKT1_PKT2_PKS4_S5_S8_SB_SD_S8_PS9_PS4_21rocsparse_index_base_SG_SG_bbb ; -- Begin function _ZN9rocsparseL29csrgeam_fill_multipass_kernelILj256ELj32Eli21rocsparse_complex_numIfEEEvllNS_24const_host_device_scalarIT3_EEPKT1_PKT2_PKS4_S5_S8_SB_SD_S8_PS9_PS4_21rocsparse_index_base_SG_SG_bbb
	.p2align	8
	.type	_ZN9rocsparseL29csrgeam_fill_multipass_kernelILj256ELj32Eli21rocsparse_complex_numIfEEEvllNS_24const_host_device_scalarIT3_EEPKT1_PKT2_PKS4_S5_S8_SB_SD_S8_PS9_PS4_21rocsparse_index_base_SG_SG_bbb,@function
_ZN9rocsparseL29csrgeam_fill_multipass_kernelILj256ELj32Eli21rocsparse_complex_numIfEEEvllNS_24const_host_device_scalarIT3_EEPKT1_PKT2_PKS4_S5_S8_SB_SD_S8_PS9_PS4_21rocsparse_index_base_SG_SG_bbb: ; @_ZN9rocsparseL29csrgeam_fill_multipass_kernelILj256ELj32Eli21rocsparse_complex_numIfEEEvllNS_24const_host_device_scalarIT3_EEPKT1_PKT2_PKS4_S5_S8_SB_SD_S8_PS9_PS4_21rocsparse_index_base_SG_SG_bbb
; %bb.0:
	s_clause 0x5
	s_load_b32 s13, s[0:1], 0x74
	s_load_b64 s[2:3], s[0:1], 0x60
	s_load_b128 s[36:39], s[0:1], 0x68
	s_load_b256 s[4:11], s[0:1], 0x40
	s_load_b256 s[16:23], s[0:1], 0x0
	;; [unrolled: 1-line block ×3, first 2 shown]
	s_mov_b32 s12, 0
	s_mov_b32 s1, 0
	s_waitcnt lgkmcnt(0)
	s_bitcmp1_b32 s13, 16
	s_cselect_b32 s0, -1, 0
	s_delay_alu instid0(SALU_CYCLE_1) | instskip(SKIP_2) | instid1(VALU_DEP_1)
	s_xor_b32 s0, s0, -1
	s_bitcmp0_b32 s39, 0
	v_cndmask_b32_e64 v1, 0, 1, s0
	v_cmp_ne_u32_e32 vcc_lo, 1, v1
	s_cbranch_scc1 .LBB14_6
; %bb.1:
	s_and_b32 vcc_lo, exec_lo, vcc_lo
	s_mov_b32 s1, s20
	s_cbranch_vccnz .LBB14_3
; %bb.2:
	s_load_b32 s1, s[20:21], 0x0
.LBB14_3:
	s_and_not1_b32 vcc_lo, exec_lo, s0
	s_cbranch_vccnz .LBB14_5
; %bb.4:
	s_load_b32 s21, s[20:21], 0x4
.LBB14_5:
	s_waitcnt lgkmcnt(0)
	s_mov_b32 s12, s21
.LBB14_6:
	s_bfe_u32 s0, s13, 0x10008
	s_mov_b32 s14, 0
	s_cmp_eq_u32 s0, 0
	s_mov_b32 s13, 0
	s_cbranch_scc1 .LBB14_12
; %bb.7:
	v_cmp_ne_u32_e32 vcc_lo, 1, v1
	s_mov_b32 s13, s28
	s_cbranch_vccnz .LBB14_9
; %bb.8:
	s_load_b32 s13, s[28:29], 0x0
.LBB14_9:
	v_cmp_ne_u32_e32 vcc_lo, 1, v1
	s_cbranch_vccnz .LBB14_11
; %bb.10:
	s_load_b32 s29, s[28:29], 0x4
.LBB14_11:
	s_waitcnt lgkmcnt(0)
	s_mov_b32 s14, s29
.LBB14_12:
	v_lshrrev_b32_e32 v1, 5, v0
	s_lshl_b32 s0, s15, 3
	v_mov_b32_e32 v2, 0
	s_delay_alu instid0(VALU_DEP_2) | instskip(SKIP_1) | instid1(VALU_DEP_1)
	v_and_or_b32 v1, 0x7fffff8, s0, v1
	s_mov_b32 s0, exec_lo
	v_cmpx_gt_i64_e64 s[16:17], v[1:2]
	s_cbranch_execz .LBB14_41
; %bb.13:
	v_lshlrev_b32_e32 v9, 3, v1
	s_clause 0x2
	global_load_b128 v[1:4], v9, s[22:23]
	global_load_b128 v[5:8], v9, s[30:31]
	global_load_b64 v[11:12], v9, s[8:9]
	s_waitcnt vmcnt(2)
	v_sub_co_u32 v9, s0, v1, s36
	s_delay_alu instid0(VALU_DEP_1) | instskip(SKIP_3) | instid1(SALU_CYCLE_1)
	v_subrev_co_ci_u32_e64 v10, s0, 0, v2, s0
	s_mov_b32 s0, exec_lo
	v_cmpx_ge_i64_e64 v[1:2], v[3:4]
	s_xor_b32 s0, exec_lo, s0
	s_or_saveexec_b32 s0, s0
	v_mov_b32_e32 v15, s18
	s_xor_b32 exec_lo, exec_lo, s0
	s_cbranch_execz .LBB14_15
; %bb.14:
	v_lshlrev_b64 v[1:2], 2, v[9:10]
	s_delay_alu instid0(VALU_DEP_1) | instskip(NEXT) | instid1(VALU_DEP_2)
	v_add_co_u32 v1, vcc_lo, s24, v1
	v_add_co_ci_u32_e32 v2, vcc_lo, s25, v2, vcc_lo
	global_load_b32 v1, v[1:2], off
	s_waitcnt vmcnt(0)
	v_subrev_nc_u32_e32 v15, s36, v1
.LBB14_15:
	s_or_b32 exec_lo, exec_lo, s0
	s_waitcnt vmcnt(1)
	v_sub_co_u32 v13, s0, v5, s37
	s_delay_alu instid0(VALU_DEP_1) | instskip(SKIP_4) | instid1(SALU_CYCLE_1)
	v_subrev_co_ci_u32_e64 v14, s0, 0, v6, s0
	s_mov_b32 s0, s37
	s_mov_b32 s8, exec_lo
	v_cmpx_ge_i64_e64 v[5:6], v[7:8]
	s_xor_b32 s8, exec_lo, s8
	s_or_saveexec_b32 s8, s8
	v_dual_mov_b32 v16, s18 :: v_dual_mov_b32 v5, s18
	s_xor_b32 exec_lo, exec_lo, s8
	s_cbranch_execz .LBB14_17
; %bb.16:
	v_lshlrev_b64 v[1:2], 2, v[13:14]
	v_mov_b32_e32 v16, s18
	s_delay_alu instid0(VALU_DEP_2) | instskip(NEXT) | instid1(VALU_DEP_3)
	v_add_co_u32 v1, vcc_lo, s4, v1
	v_add_co_ci_u32_e32 v2, vcc_lo, s5, v2, vcc_lo
	global_load_b32 v1, v[1:2], off
	s_waitcnt vmcnt(0)
	v_subrev_nc_u32_e32 v5, s37, v1
.LBB14_17:
	s_or_b32 exec_lo, exec_lo, s8
	v_and_b32_e32 v1, 0xe0, v0
	v_and_b32_e32 v6, 31, v0
	s_add_u32 s9, s10, -4
	s_addc_u32 s10, s11, -1
	s_add_u32 s2, s2, -8
	v_or_b32_e32 v17, 0x800, v1
	v_lshlrev_b32_e32 v18, 3, v1
	v_sub_co_u32 v1, vcc_lo, v3, s36
	v_subrev_co_ci_u32_e32 v2, vcc_lo, 0, v4, vcc_lo
	v_sub_co_u32 v3, vcc_lo, v7, s0
	v_subrev_co_ci_u32_e32 v4, vcc_lo, 0, v8, vcc_lo
	s_waitcnt vmcnt(0)
	v_sub_co_u32 v0, vcc_lo, v11, s38
	v_subrev_co_ci_u32_e32 v19, vcc_lo, 0, v12, vcc_lo
	v_mbcnt_lo_u32_b32 v12, -1, 0
	v_add_co_u32 v7, vcc_lo, v9, v6
	v_add_co_ci_u32_e32 v8, vcc_lo, 0, v10, vcc_lo
	v_add_co_u32 v9, vcc_lo, v13, v6
	s_delay_alu instid0(VALU_DEP_4) | instskip(SKIP_3) | instid1(VALU_DEP_4)
	v_xor_b32_e32 v13, 16, v12
	v_add_co_ci_u32_e32 v10, vcc_lo, 0, v14, vcc_lo
	v_min_i32_e32 v11, v5, v15
	v_mov_b32_e32 v5, 0
	v_cmp_gt_i32_e32 vcc_lo, 32, v13
	v_xor_b32_e32 v14, 8, v12
	v_xor_b32_e32 v23, 2, v12
	;; [unrolled: 1-line block ×3, first 2 shown]
	s_addc_u32 s3, s3, -1
	v_cndmask_b32_e32 v13, v12, v13, vcc_lo
	v_xor_b32_e32 v15, 31, v6
	v_cmp_gt_i32_e32 vcc_lo, 32, v14
	v_lshl_or_b32 v20, v6, 3, v18
	s_add_u32 s11, s26, 4
	v_add_nc_u32_e32 v28, v17, v6
	v_lshrrev_b32_e64 v21, v15, -1
	v_xor_b32_e32 v15, 4, v12
	v_cndmask_b32_e32 v14, v12, v14, vcc_lo
	s_addc_u32 s15, s27, 0
	s_add_u32 s6, s6, 4
	s_mov_b32 s8, 0
	v_cmp_gt_i32_e32 vcc_lo, 32, v15
	v_add_nc_u32_e32 v22, s38, v6
	s_addc_u32 s7, s7, 0
	v_dual_mov_b32 v29, 1 :: v_dual_mov_b32 v6, v5
	v_cndmask_b32_e32 v15, v12, v15, vcc_lo
	v_cmp_gt_i32_e32 vcc_lo, 32, v23
	s_delay_alu instid0(VALU_DEP_2) | instskip(SKIP_2) | instid1(VALU_DEP_2)
	v_lshlrev_b32_e32 v25, 2, v15
	v_dual_cndmask_b32 v26, v12, v23 :: v_dual_lshlrev_b32 v23, 2, v13
	v_cmp_gt_i32_e32 vcc_lo, 32, v24
	v_lshlrev_b32_e32 v26, 2, v26
	v_cndmask_b32_e32 v12, v12, v24, vcc_lo
	v_lshlrev_b32_e32 v24, 2, v14
	s_delay_alu instid0(VALU_DEP_2)
	v_lshlrev_b32_e32 v27, 2, v12
	s_branch .LBB14_19
.LBB14_18:                              ;   in Loop: Header=BB14_19 Depth=1
	s_or_b32 exec_lo, exec_lo, s16
	ds_bpermute_b32 v11, v23, v30
	s_bcnt1_i32_b32 s0, vcc_lo
	s_delay_alu instid0(SALU_CYCLE_1) | instskip(NEXT) | instid1(VALU_DEP_1)
	v_add_co_u32 v0, s0, v0, s0
	v_add_co_ci_u32_e64 v19, s0, 0, v19, s0
	s_waitcnt lgkmcnt(0)
	v_min_i32_e32 v11, v11, v30
	ds_bpermute_b32 v12, v24, v11
	s_waitcnt lgkmcnt(0)
	v_min_i32_e32 v11, v12, v11
	ds_bpermute_b32 v12, v25, v11
	;; [unrolled: 3-line block ×4, first 2 shown]
	s_waitcnt lgkmcnt(0)
	v_min_i32_e32 v11, v12, v11
	s_delay_alu instid0(VALU_DEP_1) | instskip(NEXT) | instid1(VALU_DEP_1)
	v_ashrrev_i32_e32 v12, 31, v11
	v_cmp_le_i64_e32 vcc_lo, s[18:19], v[11:12]
	s_or_b32 s8, vcc_lo, s8
	s_delay_alu instid0(SALU_CYCLE_1)
	s_and_not1_b32 exec_lo, exec_lo, s8
	s_cbranch_execz .LBB14_41
.LBB14_19:                              ; =>This Loop Header: Depth=1
                                        ;     Child Loop BB14_22 Depth 2
                                        ;     Child Loop BB14_32 Depth 2
	v_mov_b32_e32 v30, v16
	s_mov_b32 s16, exec_lo
	ds_store_b8 v28, v5
	ds_store_b64 v20, v[5:6]
	s_waitcnt lgkmcnt(0)
	buffer_gl0_inv
	v_cmpx_lt_i64_e64 v[7:8], v[1:2]
	s_cbranch_execz .LBB14_29
; %bb.20:                               ;   in Loop: Header=BB14_19 Depth=1
	v_lshlrev_b64 v[12:13], 2, v[7:8]
	v_lshlrev_b64 v[14:15], 3, v[7:8]
	v_mov_b32_e32 v30, v16
	s_mov_b32 s17, 0
	s_delay_alu instid0(VALU_DEP_3) | instskip(NEXT) | instid1(VALU_DEP_4)
	v_add_co_u32 v12, vcc_lo, s24, v12
	v_add_co_ci_u32_e32 v13, vcc_lo, s25, v13, vcc_lo
	s_delay_alu instid0(VALU_DEP_4)
	v_add_co_u32 v14, vcc_lo, s11, v14
	v_add_co_ci_u32_e32 v15, vcc_lo, s15, v15, vcc_lo
	s_branch .LBB14_22
.LBB14_21:                              ;   in Loop: Header=BB14_22 Depth=2
	s_or_b32 exec_lo, exec_lo, s20
	s_delay_alu instid0(SALU_CYCLE_1) | instskip(NEXT) | instid1(SALU_CYCLE_1)
	s_and_b32 s0, exec_lo, s0
	s_or_b32 s17, s0, s17
	s_delay_alu instid0(SALU_CYCLE_1)
	s_and_not1_b32 exec_lo, exec_lo, s17
	s_cbranch_execz .LBB14_28
.LBB14_22:                              ;   Parent Loop BB14_19 Depth=1
                                        ; =>  This Inner Loop Header: Depth=2
	global_load_b32 v31, v[12:13], off
	s_waitcnt vmcnt(0)
	v_subrev_nc_u32_e32 v32, s36, v31
	s_delay_alu instid0(VALU_DEP_1) | instskip(NEXT) | instid1(VALU_DEP_1)
	v_sub_nc_u32_e32 v31, v32, v11
	v_cmp_gt_u32_e32 vcc_lo, 32, v31
	v_cmp_lt_u32_e64 s0, 31, v31
	s_delay_alu instid0(VALU_DEP_1) | instskip(NEXT) | instid1(SALU_CYCLE_1)
	s_and_saveexec_b32 s20, s0
	s_xor_b32 s0, exec_lo, s20
	s_cbranch_execnz .LBB14_25
; %bb.23:                               ;   in Loop: Header=BB14_22 Depth=2
	s_and_not1_saveexec_b32 s0, s0
	s_cbranch_execnz .LBB14_26
.LBB14_24:                              ;   in Loop: Header=BB14_22 Depth=2
	s_or_b32 exec_lo, exec_lo, s0
	s_mov_b32 s0, -1
	s_and_saveexec_b32 s20, vcc_lo
	s_cbranch_execz .LBB14_21
	s_branch .LBB14_27
.LBB14_25:                              ;   in Loop: Header=BB14_22 Depth=2
	v_min_i32_e32 v30, v32, v30
                                        ; implicit-def: $vgpr31
	s_and_not1_saveexec_b32 s0, s0
	s_cbranch_execz .LBB14_24
.LBB14_26:                              ;   in Loop: Header=BB14_22 Depth=2
	global_load_b64 v[32:33], v[14:15], off offset:-4
	s_waitcnt vmcnt(0)
	v_mul_f32_e64 v34, v33, -s12
	v_mul_f32_e32 v35, s1, v33
	v_add_nc_u32_e32 v33, v17, v31
	v_lshl_add_u32 v31, v31, 3, v18
	s_delay_alu instid0(VALU_DEP_4) | instskip(NEXT) | instid1(VALU_DEP_4)
	v_fmac_f32_e32 v34, s1, v32
	v_fmac_f32_e32 v35, s12, v32
	ds_store_b8 v33, v29
	ds_store_b64 v31, v[34:35]
	s_or_b32 exec_lo, exec_lo, s0
	s_mov_b32 s0, -1
	s_and_saveexec_b32 s20, vcc_lo
	s_cbranch_execz .LBB14_21
.LBB14_27:                              ;   in Loop: Header=BB14_22 Depth=2
	v_add_co_u32 v7, vcc_lo, v7, 32
	v_add_co_ci_u32_e32 v8, vcc_lo, 0, v8, vcc_lo
	v_add_co_u32 v12, vcc_lo, 0x80, v12
	v_add_co_ci_u32_e32 v13, vcc_lo, 0, v13, vcc_lo
	s_delay_alu instid0(VALU_DEP_3) | instskip(SKIP_1) | instid1(VALU_DEP_1)
	v_cmp_ge_i64_e32 vcc_lo, v[7:8], v[1:2]
	v_add_co_u32 v14, s0, 0x100, v14
	v_add_co_ci_u32_e64 v15, s0, 0, v15, s0
	s_or_not1_b32 s0, vcc_lo, exec_lo
	s_branch .LBB14_21
.LBB14_28:                              ;   in Loop: Header=BB14_19 Depth=1
	s_or_b32 exec_lo, exec_lo, s17
.LBB14_29:                              ;   in Loop: Header=BB14_19 Depth=1
	s_delay_alu instid0(SALU_CYCLE_1) | instskip(NEXT) | instid1(SALU_CYCLE_1)
	s_or_b32 exec_lo, exec_lo, s16
	s_mov_b32 s16, exec_lo
	s_waitcnt lgkmcnt(0)
	buffer_gl0_inv
	v_cmpx_lt_i64_e64 v[9:10], v[3:4]
	s_cbranch_execz .LBB14_39
; %bb.30:                               ;   in Loop: Header=BB14_19 Depth=1
	v_lshlrev_b64 v[12:13], 2, v[9:10]
	v_lshlrev_b64 v[14:15], 3, v[9:10]
	s_mov_b32 s17, 0
	s_delay_alu instid0(VALU_DEP_2) | instskip(NEXT) | instid1(VALU_DEP_3)
	v_add_co_u32 v12, vcc_lo, s4, v12
	v_add_co_ci_u32_e32 v13, vcc_lo, s5, v13, vcc_lo
	s_delay_alu instid0(VALU_DEP_3) | instskip(NEXT) | instid1(VALU_DEP_4)
	v_add_co_u32 v14, vcc_lo, s6, v14
	v_add_co_ci_u32_e32 v15, vcc_lo, s7, v15, vcc_lo
	s_branch .LBB14_32
.LBB14_31:                              ;   in Loop: Header=BB14_32 Depth=2
	s_or_b32 exec_lo, exec_lo, s20
	s_delay_alu instid0(SALU_CYCLE_1) | instskip(NEXT) | instid1(SALU_CYCLE_1)
	s_and_b32 s0, exec_lo, s0
	s_or_b32 s17, s0, s17
	s_delay_alu instid0(SALU_CYCLE_1)
	s_and_not1_b32 exec_lo, exec_lo, s17
	s_cbranch_execz .LBB14_38
.LBB14_32:                              ;   Parent Loop BB14_19 Depth=1
                                        ; =>  This Inner Loop Header: Depth=2
	global_load_b32 v31, v[12:13], off
	s_waitcnt vmcnt(0)
	v_subrev_nc_u32_e32 v32, s37, v31
	s_delay_alu instid0(VALU_DEP_1) | instskip(NEXT) | instid1(VALU_DEP_1)
	v_sub_nc_u32_e32 v31, v32, v11
	v_cmp_gt_u32_e32 vcc_lo, 32, v31
	v_cmp_lt_u32_e64 s0, 31, v31
	s_delay_alu instid0(VALU_DEP_1) | instskip(NEXT) | instid1(SALU_CYCLE_1)
	s_and_saveexec_b32 s20, s0
	s_xor_b32 s0, exec_lo, s20
	s_cbranch_execnz .LBB14_35
; %bb.33:                               ;   in Loop: Header=BB14_32 Depth=2
	s_and_not1_saveexec_b32 s0, s0
	s_cbranch_execnz .LBB14_36
.LBB14_34:                              ;   in Loop: Header=BB14_32 Depth=2
	s_or_b32 exec_lo, exec_lo, s0
	s_mov_b32 s0, -1
	s_and_saveexec_b32 s20, vcc_lo
	s_cbranch_execz .LBB14_31
	s_branch .LBB14_37
.LBB14_35:                              ;   in Loop: Header=BB14_32 Depth=2
	v_min_i32_e32 v30, v32, v30
                                        ; implicit-def: $vgpr31
	s_and_not1_saveexec_b32 s0, s0
	s_cbranch_execz .LBB14_34
.LBB14_36:                              ;   in Loop: Header=BB14_32 Depth=2
	global_load_b64 v[32:33], v[14:15], off offset:-4
	v_lshl_add_u32 v36, v31, 3, v18
	v_add_nc_u32_e32 v31, v17, v31
	ds_load_b64 v[34:35], v36
	s_waitcnt vmcnt(0) lgkmcnt(0)
	v_fma_f32 v34, s13, v32, v34
	v_fmac_f32_e32 v35, s14, v32
	s_delay_alu instid0(VALU_DEP_2) | instskip(NEXT) | instid1(VALU_DEP_2)
	v_fma_f32 v34, -s14, v33, v34
	v_fmac_f32_e32 v35, s13, v33
	ds_store_b8 v31, v29
	ds_store_b64 v36, v[34:35]
	s_or_b32 exec_lo, exec_lo, s0
	s_mov_b32 s0, -1
	s_and_saveexec_b32 s20, vcc_lo
	s_cbranch_execz .LBB14_31
.LBB14_37:                              ;   in Loop: Header=BB14_32 Depth=2
	v_add_co_u32 v9, vcc_lo, v9, 32
	v_add_co_ci_u32_e32 v10, vcc_lo, 0, v10, vcc_lo
	v_add_co_u32 v12, vcc_lo, 0x80, v12
	v_add_co_ci_u32_e32 v13, vcc_lo, 0, v13, vcc_lo
	s_delay_alu instid0(VALU_DEP_3) | instskip(SKIP_1) | instid1(VALU_DEP_1)
	v_cmp_ge_i64_e32 vcc_lo, v[9:10], v[3:4]
	v_add_co_u32 v14, s0, 0x100, v14
	v_add_co_ci_u32_e64 v15, s0, 0, v15, s0
	s_or_not1_b32 s0, vcc_lo, exec_lo
	s_branch .LBB14_31
.LBB14_38:                              ;   in Loop: Header=BB14_19 Depth=1
	s_or_b32 exec_lo, exec_lo, s17
.LBB14_39:                              ;   in Loop: Header=BB14_19 Depth=1
	s_delay_alu instid0(SALU_CYCLE_1)
	s_or_b32 exec_lo, exec_lo, s16
	s_waitcnt lgkmcnt(0)
	buffer_gl0_inv
	ds_load_u8 v12, v28
	s_mov_b32 s16, exec_lo
	s_waitcnt lgkmcnt(0)
	v_and_b32_e32 v13, 1, v12
	v_cmp_ne_u16_e32 vcc_lo, 0, v12
	s_delay_alu instid0(VALU_DEP_2)
	v_cmpx_eq_u32_e32 1, v13
	s_cbranch_execz .LBB14_18
; %bb.40:                               ;   in Loop: Header=BB14_19 Depth=1
	v_and_b32_e32 v12, vcc_lo, v21
	ds_load_b64 v[14:15], v20
	v_add_nc_u32_e32 v33, v22, v11
	v_bcnt_u32_b32 v12, v12, 0
	s_delay_alu instid0(VALU_DEP_1) | instskip(NEXT) | instid1(VALU_DEP_1)
	v_add_co_u32 v12, s0, v0, v12
	v_add_co_ci_u32_e64 v13, s0, 0, v19, s0
	s_delay_alu instid0(VALU_DEP_1) | instskip(SKIP_1) | instid1(VALU_DEP_2)
	v_lshlrev_b64 v[31:32], 2, v[12:13]
	v_lshlrev_b64 v[11:12], 3, v[12:13]
	v_add_co_u32 v31, s0, s9, v31
	s_delay_alu instid0(VALU_DEP_1) | instskip(NEXT) | instid1(VALU_DEP_3)
	v_add_co_ci_u32_e64 v32, s0, s10, v32, s0
	v_add_co_u32 v11, s0, s2, v11
	s_delay_alu instid0(VALU_DEP_1)
	v_add_co_ci_u32_e64 v12, s0, s3, v12, s0
	global_store_b32 v[31:32], v33, off
	s_waitcnt lgkmcnt(0)
	global_store_b64 v[11:12], v[14:15], off
	s_branch .LBB14_18
.LBB14_41:
	s_nop 0
	s_sendmsg sendmsg(MSG_DEALLOC_VGPRS)
	s_endpgm
	.section	.rodata,"a",@progbits
	.p2align	6, 0x0
	.amdhsa_kernel _ZN9rocsparseL29csrgeam_fill_multipass_kernelILj256ELj32Eli21rocsparse_complex_numIfEEEvllNS_24const_host_device_scalarIT3_EEPKT1_PKT2_PKS4_S5_S8_SB_SD_S8_PS9_PS4_21rocsparse_index_base_SG_SG_bbb
		.amdhsa_group_segment_fixed_size 2304
		.amdhsa_private_segment_fixed_size 0
		.amdhsa_kernarg_size 120
		.amdhsa_user_sgpr_count 15
		.amdhsa_user_sgpr_dispatch_ptr 0
		.amdhsa_user_sgpr_queue_ptr 0
		.amdhsa_user_sgpr_kernarg_segment_ptr 1
		.amdhsa_user_sgpr_dispatch_id 0
		.amdhsa_user_sgpr_private_segment_size 0
		.amdhsa_wavefront_size32 1
		.amdhsa_uses_dynamic_stack 0
		.amdhsa_enable_private_segment 0
		.amdhsa_system_sgpr_workgroup_id_x 1
		.amdhsa_system_sgpr_workgroup_id_y 0
		.amdhsa_system_sgpr_workgroup_id_z 0
		.amdhsa_system_sgpr_workgroup_info 0
		.amdhsa_system_vgpr_workitem_id 0
		.amdhsa_next_free_vgpr 37
		.amdhsa_next_free_sgpr 40
		.amdhsa_reserve_vcc 1
		.amdhsa_float_round_mode_32 0
		.amdhsa_float_round_mode_16_64 0
		.amdhsa_float_denorm_mode_32 3
		.amdhsa_float_denorm_mode_16_64 3
		.amdhsa_dx10_clamp 1
		.amdhsa_ieee_mode 1
		.amdhsa_fp16_overflow 0
		.amdhsa_workgroup_processor_mode 1
		.amdhsa_memory_ordered 1
		.amdhsa_forward_progress 0
		.amdhsa_shared_vgpr_count 0
		.amdhsa_exception_fp_ieee_invalid_op 0
		.amdhsa_exception_fp_denorm_src 0
		.amdhsa_exception_fp_ieee_div_zero 0
		.amdhsa_exception_fp_ieee_overflow 0
		.amdhsa_exception_fp_ieee_underflow 0
		.amdhsa_exception_fp_ieee_inexact 0
		.amdhsa_exception_int_div_zero 0
	.end_amdhsa_kernel
	.section	.text._ZN9rocsparseL29csrgeam_fill_multipass_kernelILj256ELj32Eli21rocsparse_complex_numIfEEEvllNS_24const_host_device_scalarIT3_EEPKT1_PKT2_PKS4_S5_S8_SB_SD_S8_PS9_PS4_21rocsparse_index_base_SG_SG_bbb,"axG",@progbits,_ZN9rocsparseL29csrgeam_fill_multipass_kernelILj256ELj32Eli21rocsparse_complex_numIfEEEvllNS_24const_host_device_scalarIT3_EEPKT1_PKT2_PKS4_S5_S8_SB_SD_S8_PS9_PS4_21rocsparse_index_base_SG_SG_bbb,comdat
.Lfunc_end14:
	.size	_ZN9rocsparseL29csrgeam_fill_multipass_kernelILj256ELj32Eli21rocsparse_complex_numIfEEEvllNS_24const_host_device_scalarIT3_EEPKT1_PKT2_PKS4_S5_S8_SB_SD_S8_PS9_PS4_21rocsparse_index_base_SG_SG_bbb, .Lfunc_end14-_ZN9rocsparseL29csrgeam_fill_multipass_kernelILj256ELj32Eli21rocsparse_complex_numIfEEEvllNS_24const_host_device_scalarIT3_EEPKT1_PKT2_PKS4_S5_S8_SB_SD_S8_PS9_PS4_21rocsparse_index_base_SG_SG_bbb
                                        ; -- End function
	.section	.AMDGPU.csdata,"",@progbits
; Kernel info:
; codeLenInByte = 1852
; NumSgprs: 42
; NumVgprs: 37
; ScratchSize: 0
; MemoryBound: 0
; FloatMode: 240
; IeeeMode: 1
; LDSByteSize: 2304 bytes/workgroup (compile time only)
; SGPRBlocks: 5
; VGPRBlocks: 4
; NumSGPRsForWavesPerEU: 42
; NumVGPRsForWavesPerEU: 37
; Occupancy: 16
; WaveLimiterHint : 1
; COMPUTE_PGM_RSRC2:SCRATCH_EN: 0
; COMPUTE_PGM_RSRC2:USER_SGPR: 15
; COMPUTE_PGM_RSRC2:TRAP_HANDLER: 0
; COMPUTE_PGM_RSRC2:TGID_X_EN: 1
; COMPUTE_PGM_RSRC2:TGID_Y_EN: 0
; COMPUTE_PGM_RSRC2:TGID_Z_EN: 0
; COMPUTE_PGM_RSRC2:TIDIG_COMP_CNT: 0
	.section	.text._ZN9rocsparseL29csrgeam_fill_multipass_kernelILj256ELj64Eli21rocsparse_complex_numIfEEEvllNS_24const_host_device_scalarIT3_EEPKT1_PKT2_PKS4_S5_S8_SB_SD_S8_PS9_PS4_21rocsparse_index_base_SG_SG_bbb,"axG",@progbits,_ZN9rocsparseL29csrgeam_fill_multipass_kernelILj256ELj64Eli21rocsparse_complex_numIfEEEvllNS_24const_host_device_scalarIT3_EEPKT1_PKT2_PKS4_S5_S8_SB_SD_S8_PS9_PS4_21rocsparse_index_base_SG_SG_bbb,comdat
	.globl	_ZN9rocsparseL29csrgeam_fill_multipass_kernelILj256ELj64Eli21rocsparse_complex_numIfEEEvllNS_24const_host_device_scalarIT3_EEPKT1_PKT2_PKS4_S5_S8_SB_SD_S8_PS9_PS4_21rocsparse_index_base_SG_SG_bbb ; -- Begin function _ZN9rocsparseL29csrgeam_fill_multipass_kernelILj256ELj64Eli21rocsparse_complex_numIfEEEvllNS_24const_host_device_scalarIT3_EEPKT1_PKT2_PKS4_S5_S8_SB_SD_S8_PS9_PS4_21rocsparse_index_base_SG_SG_bbb
	.p2align	8
	.type	_ZN9rocsparseL29csrgeam_fill_multipass_kernelILj256ELj64Eli21rocsparse_complex_numIfEEEvllNS_24const_host_device_scalarIT3_EEPKT1_PKT2_PKS4_S5_S8_SB_SD_S8_PS9_PS4_21rocsparse_index_base_SG_SG_bbb,@function
_ZN9rocsparseL29csrgeam_fill_multipass_kernelILj256ELj64Eli21rocsparse_complex_numIfEEEvllNS_24const_host_device_scalarIT3_EEPKT1_PKT2_PKS4_S5_S8_SB_SD_S8_PS9_PS4_21rocsparse_index_base_SG_SG_bbb: ; @_ZN9rocsparseL29csrgeam_fill_multipass_kernelILj256ELj64Eli21rocsparse_complex_numIfEEEvllNS_24const_host_device_scalarIT3_EEPKT1_PKT2_PKS4_S5_S8_SB_SD_S8_PS9_PS4_21rocsparse_index_base_SG_SG_bbb
; %bb.0:
	s_clause 0x5
	s_load_b32 s13, s[0:1], 0x74
	s_load_b64 s[2:3], s[0:1], 0x60
	s_load_b128 s[36:39], s[0:1], 0x68
	s_load_b256 s[4:11], s[0:1], 0x40
	s_load_b256 s[16:23], s[0:1], 0x0
	;; [unrolled: 1-line block ×3, first 2 shown]
	s_mov_b32 s12, 0
	s_mov_b32 s1, 0
	s_waitcnt lgkmcnt(0)
	s_bitcmp1_b32 s13, 16
	s_cselect_b32 s0, -1, 0
	s_delay_alu instid0(SALU_CYCLE_1) | instskip(SKIP_2) | instid1(VALU_DEP_1)
	s_xor_b32 s0, s0, -1
	s_bitcmp0_b32 s39, 0
	v_cndmask_b32_e64 v1, 0, 1, s0
	v_cmp_ne_u32_e32 vcc_lo, 1, v1
	s_cbranch_scc1 .LBB15_6
; %bb.1:
	s_and_b32 vcc_lo, exec_lo, vcc_lo
	s_mov_b32 s1, s20
	s_cbranch_vccnz .LBB15_3
; %bb.2:
	s_load_b32 s1, s[20:21], 0x0
.LBB15_3:
	s_and_not1_b32 vcc_lo, exec_lo, s0
	s_cbranch_vccnz .LBB15_5
; %bb.4:
	s_load_b32 s21, s[20:21], 0x4
.LBB15_5:
	s_waitcnt lgkmcnt(0)
	s_mov_b32 s12, s21
.LBB15_6:
	s_bfe_u32 s0, s13, 0x10008
	s_mov_b32 s14, 0
	s_cmp_eq_u32 s0, 0
	s_mov_b32 s13, 0
	s_cbranch_scc1 .LBB15_12
; %bb.7:
	v_cmp_ne_u32_e32 vcc_lo, 1, v1
	s_mov_b32 s13, s28
	s_cbranch_vccnz .LBB15_9
; %bb.8:
	s_load_b32 s13, s[28:29], 0x0
.LBB15_9:
	v_cmp_ne_u32_e32 vcc_lo, 1, v1
	s_cbranch_vccnz .LBB15_11
; %bb.10:
	s_load_b32 s29, s[28:29], 0x4
.LBB15_11:
	s_waitcnt lgkmcnt(0)
	s_mov_b32 s14, s29
.LBB15_12:
	v_lshrrev_b32_e32 v1, 6, v0
	s_lshl_b32 s0, s15, 2
	v_mov_b32_e32 v2, 0
	s_delay_alu instid0(VALU_DEP_2) | instskip(SKIP_1) | instid1(VALU_DEP_1)
	v_and_or_b32 v1, 0x3fffffc, s0, v1
	s_mov_b32 s0, exec_lo
	v_cmpx_gt_i64_e64 s[16:17], v[1:2]
	s_cbranch_execz .LBB15_41
; %bb.13:
	v_lshlrev_b32_e32 v9, 3, v1
	s_clause 0x2
	global_load_b128 v[1:4], v9, s[22:23]
	global_load_b128 v[5:8], v9, s[30:31]
	global_load_b64 v[11:12], v9, s[8:9]
	s_waitcnt vmcnt(2)
	v_sub_co_u32 v9, s0, v1, s36
	s_delay_alu instid0(VALU_DEP_1) | instskip(SKIP_3) | instid1(SALU_CYCLE_1)
	v_subrev_co_ci_u32_e64 v10, s0, 0, v2, s0
	s_mov_b32 s0, exec_lo
	v_cmpx_ge_i64_e64 v[1:2], v[3:4]
	s_xor_b32 s0, exec_lo, s0
	s_or_saveexec_b32 s0, s0
	v_mov_b32_e32 v15, s18
	s_xor_b32 exec_lo, exec_lo, s0
	s_cbranch_execz .LBB15_15
; %bb.14:
	v_lshlrev_b64 v[1:2], 2, v[9:10]
	s_delay_alu instid0(VALU_DEP_1) | instskip(NEXT) | instid1(VALU_DEP_2)
	v_add_co_u32 v1, vcc_lo, s24, v1
	v_add_co_ci_u32_e32 v2, vcc_lo, s25, v2, vcc_lo
	global_load_b32 v1, v[1:2], off
	s_waitcnt vmcnt(0)
	v_subrev_nc_u32_e32 v15, s36, v1
.LBB15_15:
	s_or_b32 exec_lo, exec_lo, s0
	s_waitcnt vmcnt(1)
	v_sub_co_u32 v13, s0, v5, s37
	s_delay_alu instid0(VALU_DEP_1) | instskip(SKIP_4) | instid1(SALU_CYCLE_1)
	v_subrev_co_ci_u32_e64 v14, s0, 0, v6, s0
	s_mov_b32 s0, s37
	s_mov_b32 s8, exec_lo
	v_cmpx_ge_i64_e64 v[5:6], v[7:8]
	s_xor_b32 s8, exec_lo, s8
	s_or_saveexec_b32 s8, s8
	v_dual_mov_b32 v18, s18 :: v_dual_mov_b32 v5, s18
	s_xor_b32 exec_lo, exec_lo, s8
	s_cbranch_execz .LBB15_17
; %bb.16:
	v_lshlrev_b64 v[1:2], 2, v[13:14]
	v_mov_b32_e32 v18, s18
	s_delay_alu instid0(VALU_DEP_2) | instskip(NEXT) | instid1(VALU_DEP_3)
	v_add_co_u32 v1, vcc_lo, s4, v1
	v_add_co_ci_u32_e32 v2, vcc_lo, s5, v2, vcc_lo
	global_load_b32 v1, v[1:2], off
	s_waitcnt vmcnt(0)
	v_subrev_nc_u32_e32 v5, s37, v1
.LBB15_17:
	s_or_b32 exec_lo, exec_lo, s8
	v_and_b32_e32 v1, 0xc0, v0
	s_add_u32 s9, s10, -4
	s_addc_u32 s10, s11, -1
	s_add_u32 s2, s2, -8
	s_addc_u32 s3, s3, -1
	v_or_b32_e32 v19, 0x800, v1
	v_lshlrev_b32_e32 v20, 3, v1
	v_sub_co_u32 v1, vcc_lo, v3, s36
	v_subrev_co_ci_u32_e32 v2, vcc_lo, 0, v4, vcc_lo
	v_sub_co_u32 v3, vcc_lo, v7, s0
	v_subrev_co_ci_u32_e32 v4, vcc_lo, 0, v8, vcc_lo
	s_waitcnt vmcnt(0)
	v_sub_co_u32 v21, vcc_lo, v11, s38
	v_subrev_co_ci_u32_e32 v22, vcc_lo, 0, v12, vcc_lo
	v_mbcnt_lo_u32_b32 v12, -1, 0
	v_min_i32_e32 v11, v5, v15
	v_mov_b32_e32 v5, 0
	s_add_u32 s11, s26, 4
	s_addc_u32 s15, s27, 0
	v_xor_b32_e32 v17, 2, v12
	v_and_b32_e32 v6, 63, v0
	v_or_b32_e32 v0, 32, v12
	v_xor_b32_e32 v16, 16, v12
	v_xor_b32_e32 v25, 1, v12
	s_add_u32 s6, s6, 4
	v_add_co_u32 v7, vcc_lo, v9, v6
	v_add_co_ci_u32_e32 v8, vcc_lo, 0, v10, vcc_lo
	v_add_co_u32 v9, vcc_lo, v13, v6
	v_add_co_ci_u32_e32 v10, vcc_lo, 0, v14, vcc_lo
	v_xor_b32_e32 v13, 63, v6
	v_cmp_gt_i32_e32 vcc_lo, 32, v0
	s_mov_b32 s8, 0
	s_addc_u32 s7, s7, 0
	v_mov_b32_e32 v31, 1
	v_lshrrev_b64 v[13:14], v13, -1
	v_cndmask_b32_e32 v15, v12, v0, vcc_lo
	v_xor_b32_e32 v14, 8, v12
	v_cmp_gt_i32_e32 vcc_lo, 32, v16
	s_delay_alu instid0(VALU_DEP_3) | instskip(SKIP_1) | instid1(VALU_DEP_4)
	v_dual_cndmask_b32 v15, v12, v16 :: v_dual_lshlrev_b32 v24, 2, v15
	v_xor_b32_e32 v16, 4, v12
	v_cmp_gt_i32_e32 vcc_lo, 32, v14
	v_cndmask_b32_e32 v14, v12, v14, vcc_lo
	s_delay_alu instid0(VALU_DEP_3) | instskip(NEXT) | instid1(VALU_DEP_2)
	v_cmp_gt_i32_e32 vcc_lo, 32, v16
	v_lshlrev_b32_e32 v26, 2, v14
	v_cndmask_b32_e32 v16, v12, v16, vcc_lo
	v_cmp_gt_i32_e32 vcc_lo, 32, v17
	v_cndmask_b32_e32 v17, v12, v17, vcc_lo
	v_cmp_gt_i32_e32 vcc_lo, 32, v25
	v_add_nc_u32_e32 v23, s38, v6
	v_lshl_or_b32 v0, v6, 3, v20
	v_add_nc_u32_e32 v30, v19, v6
	v_lshlrev_b32_e32 v28, 2, v17
	v_dual_cndmask_b32 v12, v12, v25 :: v_dual_lshlrev_b32 v25, 2, v15
	v_dual_mov_b32 v6, v5 :: v_dual_lshlrev_b32 v27, 2, v16
	s_delay_alu instid0(VALU_DEP_2)
	v_lshlrev_b32_e32 v29, 2, v12
	s_branch .LBB15_19
.LBB15_18:                              ;   in Loop: Header=BB15_19 Depth=1
	s_or_b32 exec_lo, exec_lo, s16
	ds_bpermute_b32 v11, v24, v12
	s_bcnt1_i32_b32 s0, vcc_lo
	s_delay_alu instid0(SALU_CYCLE_1) | instskip(NEXT) | instid1(VALU_DEP_1)
	v_add_co_u32 v21, s0, s0, v21
	v_add_co_ci_u32_e64 v22, s0, 0, v22, s0
	s_waitcnt lgkmcnt(0)
	v_min_i32_e32 v11, v11, v12
	ds_bpermute_b32 v12, v25, v11
	s_waitcnt lgkmcnt(0)
	v_min_i32_e32 v11, v12, v11
	ds_bpermute_b32 v12, v26, v11
	;; [unrolled: 3-line block ×5, first 2 shown]
	s_waitcnt lgkmcnt(0)
	v_min_i32_e32 v11, v12, v11
	s_delay_alu instid0(VALU_DEP_1) | instskip(NEXT) | instid1(VALU_DEP_1)
	v_ashrrev_i32_e32 v12, 31, v11
	v_cmp_le_i64_e32 vcc_lo, s[18:19], v[11:12]
	s_or_b32 s8, vcc_lo, s8
	s_delay_alu instid0(SALU_CYCLE_1)
	s_and_not1_b32 exec_lo, exec_lo, s8
	s_cbranch_execz .LBB15_41
.LBB15_19:                              ; =>This Loop Header: Depth=1
                                        ;     Child Loop BB15_22 Depth 2
                                        ;     Child Loop BB15_32 Depth 2
	v_mov_b32_e32 v12, v18
	s_mov_b32 s16, exec_lo
	ds_store_b8 v30, v5
	ds_store_b64 v0, v[5:6]
	s_waitcnt lgkmcnt(0)
	buffer_gl0_inv
	v_cmpx_lt_i64_e64 v[7:8], v[1:2]
	s_cbranch_execz .LBB15_29
; %bb.20:                               ;   in Loop: Header=BB15_19 Depth=1
	v_lshlrev_b64 v[14:15], 2, v[7:8]
	v_lshlrev_b64 v[16:17], 3, v[7:8]
	v_mov_b32_e32 v12, v18
	s_mov_b32 s17, 0
	s_delay_alu instid0(VALU_DEP_3) | instskip(NEXT) | instid1(VALU_DEP_4)
	v_add_co_u32 v14, vcc_lo, s24, v14
	v_add_co_ci_u32_e32 v15, vcc_lo, s25, v15, vcc_lo
	s_delay_alu instid0(VALU_DEP_4)
	v_add_co_u32 v16, vcc_lo, s11, v16
	v_add_co_ci_u32_e32 v17, vcc_lo, s15, v17, vcc_lo
	s_branch .LBB15_22
.LBB15_21:                              ;   in Loop: Header=BB15_22 Depth=2
	s_or_b32 exec_lo, exec_lo, s20
	s_delay_alu instid0(SALU_CYCLE_1) | instskip(NEXT) | instid1(SALU_CYCLE_1)
	s_and_b32 s0, exec_lo, s0
	s_or_b32 s17, s0, s17
	s_delay_alu instid0(SALU_CYCLE_1)
	s_and_not1_b32 exec_lo, exec_lo, s17
	s_cbranch_execz .LBB15_28
.LBB15_22:                              ;   Parent Loop BB15_19 Depth=1
                                        ; =>  This Inner Loop Header: Depth=2
	global_load_b32 v32, v[14:15], off
	s_waitcnt vmcnt(0)
	v_subrev_nc_u32_e32 v33, s36, v32
	s_delay_alu instid0(VALU_DEP_1) | instskip(NEXT) | instid1(VALU_DEP_1)
	v_sub_nc_u32_e32 v32, v33, v11
	v_cmp_gt_u32_e32 vcc_lo, 64, v32
	v_cmp_lt_u32_e64 s0, 63, v32
	s_delay_alu instid0(VALU_DEP_1) | instskip(NEXT) | instid1(SALU_CYCLE_1)
	s_and_saveexec_b32 s20, s0
	s_xor_b32 s0, exec_lo, s20
	s_cbranch_execnz .LBB15_25
; %bb.23:                               ;   in Loop: Header=BB15_22 Depth=2
	s_and_not1_saveexec_b32 s0, s0
	s_cbranch_execnz .LBB15_26
.LBB15_24:                              ;   in Loop: Header=BB15_22 Depth=2
	s_or_b32 exec_lo, exec_lo, s0
	s_mov_b32 s0, -1
	s_and_saveexec_b32 s20, vcc_lo
	s_cbranch_execz .LBB15_21
	s_branch .LBB15_27
.LBB15_25:                              ;   in Loop: Header=BB15_22 Depth=2
	v_min_i32_e32 v12, v33, v12
                                        ; implicit-def: $vgpr32
	s_and_not1_saveexec_b32 s0, s0
	s_cbranch_execz .LBB15_24
.LBB15_26:                              ;   in Loop: Header=BB15_22 Depth=2
	global_load_b64 v[33:34], v[16:17], off offset:-4
	s_waitcnt vmcnt(0)
	v_mul_f32_e64 v35, v34, -s12
	v_mul_f32_e32 v36, s1, v34
	v_add_nc_u32_e32 v34, v19, v32
	v_lshl_add_u32 v32, v32, 3, v20
	s_delay_alu instid0(VALU_DEP_4) | instskip(NEXT) | instid1(VALU_DEP_4)
	v_fmac_f32_e32 v35, s1, v33
	v_fmac_f32_e32 v36, s12, v33
	ds_store_b8 v34, v31
	ds_store_b64 v32, v[35:36]
	s_or_b32 exec_lo, exec_lo, s0
	s_mov_b32 s0, -1
	s_and_saveexec_b32 s20, vcc_lo
	s_cbranch_execz .LBB15_21
.LBB15_27:                              ;   in Loop: Header=BB15_22 Depth=2
	v_add_co_u32 v7, vcc_lo, v7, 64
	v_add_co_ci_u32_e32 v8, vcc_lo, 0, v8, vcc_lo
	v_add_co_u32 v14, vcc_lo, 0x100, v14
	v_add_co_ci_u32_e32 v15, vcc_lo, 0, v15, vcc_lo
	s_delay_alu instid0(VALU_DEP_3) | instskip(SKIP_1) | instid1(VALU_DEP_1)
	v_cmp_ge_i64_e32 vcc_lo, v[7:8], v[1:2]
	v_add_co_u32 v16, s0, 0x200, v16
	v_add_co_ci_u32_e64 v17, s0, 0, v17, s0
	s_or_not1_b32 s0, vcc_lo, exec_lo
	s_branch .LBB15_21
.LBB15_28:                              ;   in Loop: Header=BB15_19 Depth=1
	s_or_b32 exec_lo, exec_lo, s17
.LBB15_29:                              ;   in Loop: Header=BB15_19 Depth=1
	s_delay_alu instid0(SALU_CYCLE_1) | instskip(NEXT) | instid1(SALU_CYCLE_1)
	s_or_b32 exec_lo, exec_lo, s16
	s_mov_b32 s16, exec_lo
	s_waitcnt lgkmcnt(0)
	buffer_gl0_inv
	v_cmpx_lt_i64_e64 v[9:10], v[3:4]
	s_cbranch_execz .LBB15_39
; %bb.30:                               ;   in Loop: Header=BB15_19 Depth=1
	v_lshlrev_b64 v[14:15], 2, v[9:10]
	v_lshlrev_b64 v[16:17], 3, v[9:10]
	s_mov_b32 s17, 0
	s_delay_alu instid0(VALU_DEP_2) | instskip(NEXT) | instid1(VALU_DEP_3)
	v_add_co_u32 v14, vcc_lo, s4, v14
	v_add_co_ci_u32_e32 v15, vcc_lo, s5, v15, vcc_lo
	s_delay_alu instid0(VALU_DEP_3) | instskip(NEXT) | instid1(VALU_DEP_4)
	v_add_co_u32 v16, vcc_lo, s6, v16
	v_add_co_ci_u32_e32 v17, vcc_lo, s7, v17, vcc_lo
	s_branch .LBB15_32
.LBB15_31:                              ;   in Loop: Header=BB15_32 Depth=2
	s_or_b32 exec_lo, exec_lo, s20
	s_delay_alu instid0(SALU_CYCLE_1) | instskip(NEXT) | instid1(SALU_CYCLE_1)
	s_and_b32 s0, exec_lo, s0
	s_or_b32 s17, s0, s17
	s_delay_alu instid0(SALU_CYCLE_1)
	s_and_not1_b32 exec_lo, exec_lo, s17
	s_cbranch_execz .LBB15_38
.LBB15_32:                              ;   Parent Loop BB15_19 Depth=1
                                        ; =>  This Inner Loop Header: Depth=2
	global_load_b32 v32, v[14:15], off
	s_waitcnt vmcnt(0)
	v_subrev_nc_u32_e32 v33, s37, v32
	s_delay_alu instid0(VALU_DEP_1) | instskip(NEXT) | instid1(VALU_DEP_1)
	v_sub_nc_u32_e32 v32, v33, v11
	v_cmp_gt_u32_e32 vcc_lo, 64, v32
	v_cmp_lt_u32_e64 s0, 63, v32
	s_delay_alu instid0(VALU_DEP_1) | instskip(NEXT) | instid1(SALU_CYCLE_1)
	s_and_saveexec_b32 s20, s0
	s_xor_b32 s0, exec_lo, s20
	s_cbranch_execnz .LBB15_35
; %bb.33:                               ;   in Loop: Header=BB15_32 Depth=2
	s_and_not1_saveexec_b32 s0, s0
	s_cbranch_execnz .LBB15_36
.LBB15_34:                              ;   in Loop: Header=BB15_32 Depth=2
	s_or_b32 exec_lo, exec_lo, s0
	s_mov_b32 s0, -1
	s_and_saveexec_b32 s20, vcc_lo
	s_cbranch_execz .LBB15_31
	s_branch .LBB15_37
.LBB15_35:                              ;   in Loop: Header=BB15_32 Depth=2
	v_min_i32_e32 v12, v33, v12
                                        ; implicit-def: $vgpr32
	s_and_not1_saveexec_b32 s0, s0
	s_cbranch_execz .LBB15_34
.LBB15_36:                              ;   in Loop: Header=BB15_32 Depth=2
	global_load_b64 v[33:34], v[16:17], off offset:-4
	v_lshl_add_u32 v37, v32, 3, v20
	v_add_nc_u32_e32 v32, v19, v32
	ds_load_b64 v[35:36], v37
	s_waitcnt vmcnt(0) lgkmcnt(0)
	v_fma_f32 v35, s13, v33, v35
	v_fmac_f32_e32 v36, s14, v33
	s_delay_alu instid0(VALU_DEP_2) | instskip(NEXT) | instid1(VALU_DEP_2)
	v_fma_f32 v35, -s14, v34, v35
	v_fmac_f32_e32 v36, s13, v34
	ds_store_b8 v32, v31
	ds_store_b64 v37, v[35:36]
	s_or_b32 exec_lo, exec_lo, s0
	s_mov_b32 s0, -1
	s_and_saveexec_b32 s20, vcc_lo
	s_cbranch_execz .LBB15_31
.LBB15_37:                              ;   in Loop: Header=BB15_32 Depth=2
	v_add_co_u32 v9, vcc_lo, v9, 64
	v_add_co_ci_u32_e32 v10, vcc_lo, 0, v10, vcc_lo
	v_add_co_u32 v14, vcc_lo, 0x100, v14
	v_add_co_ci_u32_e32 v15, vcc_lo, 0, v15, vcc_lo
	s_delay_alu instid0(VALU_DEP_3) | instskip(SKIP_1) | instid1(VALU_DEP_1)
	v_cmp_ge_i64_e32 vcc_lo, v[9:10], v[3:4]
	v_add_co_u32 v16, s0, 0x200, v16
	v_add_co_ci_u32_e64 v17, s0, 0, v17, s0
	s_or_not1_b32 s0, vcc_lo, exec_lo
	s_branch .LBB15_31
.LBB15_38:                              ;   in Loop: Header=BB15_19 Depth=1
	s_or_b32 exec_lo, exec_lo, s17
.LBB15_39:                              ;   in Loop: Header=BB15_19 Depth=1
	s_delay_alu instid0(SALU_CYCLE_1)
	s_or_b32 exec_lo, exec_lo, s16
	s_waitcnt lgkmcnt(0)
	buffer_gl0_inv
	ds_load_u8 v14, v30
	s_mov_b32 s16, exec_lo
	s_waitcnt lgkmcnt(0)
	v_and_b32_e32 v15, 1, v14
	v_cmp_ne_u16_e32 vcc_lo, 0, v14
	s_delay_alu instid0(VALU_DEP_2)
	v_cmpx_eq_u32_e32 1, v15
	s_cbranch_execz .LBB15_18
; %bb.40:                               ;   in Loop: Header=BB15_19 Depth=1
	v_and_b32_e32 v14, vcc_lo, v13
	ds_load_b64 v[16:17], v0
	v_add_nc_u32_e32 v11, v23, v11
	v_bcnt_u32_b32 v14, v14, 0
	s_delay_alu instid0(VALU_DEP_1) | instskip(NEXT) | instid1(VALU_DEP_1)
	v_add_co_u32 v14, s0, v21, v14
	v_add_co_ci_u32_e64 v15, s0, 0, v22, s0
	s_delay_alu instid0(VALU_DEP_1) | instskip(SKIP_1) | instid1(VALU_DEP_2)
	v_lshlrev_b64 v[32:33], 2, v[14:15]
	v_lshlrev_b64 v[14:15], 3, v[14:15]
	v_add_co_u32 v32, s0, s9, v32
	s_delay_alu instid0(VALU_DEP_1) | instskip(NEXT) | instid1(VALU_DEP_3)
	v_add_co_ci_u32_e64 v33, s0, s10, v33, s0
	v_add_co_u32 v14, s0, s2, v14
	s_delay_alu instid0(VALU_DEP_1)
	v_add_co_ci_u32_e64 v15, s0, s3, v15, s0
	global_store_b32 v[32:33], v11, off
	s_waitcnt lgkmcnt(0)
	global_store_b64 v[14:15], v[16:17], off
	s_branch .LBB15_18
.LBB15_41:
	s_nop 0
	s_sendmsg sendmsg(MSG_DEALLOC_VGPRS)
	s_endpgm
	.section	.rodata,"a",@progbits
	.p2align	6, 0x0
	.amdhsa_kernel _ZN9rocsparseL29csrgeam_fill_multipass_kernelILj256ELj64Eli21rocsparse_complex_numIfEEEvllNS_24const_host_device_scalarIT3_EEPKT1_PKT2_PKS4_S5_S8_SB_SD_S8_PS9_PS4_21rocsparse_index_base_SG_SG_bbb
		.amdhsa_group_segment_fixed_size 2304
		.amdhsa_private_segment_fixed_size 0
		.amdhsa_kernarg_size 120
		.amdhsa_user_sgpr_count 15
		.amdhsa_user_sgpr_dispatch_ptr 0
		.amdhsa_user_sgpr_queue_ptr 0
		.amdhsa_user_sgpr_kernarg_segment_ptr 1
		.amdhsa_user_sgpr_dispatch_id 0
		.amdhsa_user_sgpr_private_segment_size 0
		.amdhsa_wavefront_size32 1
		.amdhsa_uses_dynamic_stack 0
		.amdhsa_enable_private_segment 0
		.amdhsa_system_sgpr_workgroup_id_x 1
		.amdhsa_system_sgpr_workgroup_id_y 0
		.amdhsa_system_sgpr_workgroup_id_z 0
		.amdhsa_system_sgpr_workgroup_info 0
		.amdhsa_system_vgpr_workitem_id 0
		.amdhsa_next_free_vgpr 38
		.amdhsa_next_free_sgpr 40
		.amdhsa_reserve_vcc 1
		.amdhsa_float_round_mode_32 0
		.amdhsa_float_round_mode_16_64 0
		.amdhsa_float_denorm_mode_32 3
		.amdhsa_float_denorm_mode_16_64 3
		.amdhsa_dx10_clamp 1
		.amdhsa_ieee_mode 1
		.amdhsa_fp16_overflow 0
		.amdhsa_workgroup_processor_mode 1
		.amdhsa_memory_ordered 1
		.amdhsa_forward_progress 0
		.amdhsa_shared_vgpr_count 0
		.amdhsa_exception_fp_ieee_invalid_op 0
		.amdhsa_exception_fp_denorm_src 0
		.amdhsa_exception_fp_ieee_div_zero 0
		.amdhsa_exception_fp_ieee_overflow 0
		.amdhsa_exception_fp_ieee_underflow 0
		.amdhsa_exception_fp_ieee_inexact 0
		.amdhsa_exception_int_div_zero 0
	.end_amdhsa_kernel
	.section	.text._ZN9rocsparseL29csrgeam_fill_multipass_kernelILj256ELj64Eli21rocsparse_complex_numIfEEEvllNS_24const_host_device_scalarIT3_EEPKT1_PKT2_PKS4_S5_S8_SB_SD_S8_PS9_PS4_21rocsparse_index_base_SG_SG_bbb,"axG",@progbits,_ZN9rocsparseL29csrgeam_fill_multipass_kernelILj256ELj64Eli21rocsparse_complex_numIfEEEvllNS_24const_host_device_scalarIT3_EEPKT1_PKT2_PKS4_S5_S8_SB_SD_S8_PS9_PS4_21rocsparse_index_base_SG_SG_bbb,comdat
.Lfunc_end15:
	.size	_ZN9rocsparseL29csrgeam_fill_multipass_kernelILj256ELj64Eli21rocsparse_complex_numIfEEEvllNS_24const_host_device_scalarIT3_EEPKT1_PKT2_PKS4_S5_S8_SB_SD_S8_PS9_PS4_21rocsparse_index_base_SG_SG_bbb, .Lfunc_end15-_ZN9rocsparseL29csrgeam_fill_multipass_kernelILj256ELj64Eli21rocsparse_complex_numIfEEEvllNS_24const_host_device_scalarIT3_EEPKT1_PKT2_PKS4_S5_S8_SB_SD_S8_PS9_PS4_21rocsparse_index_base_SG_SG_bbb
                                        ; -- End function
	.section	.AMDGPU.csdata,"",@progbits
; Kernel info:
; codeLenInByte = 1884
; NumSgprs: 42
; NumVgprs: 38
; ScratchSize: 0
; MemoryBound: 0
; FloatMode: 240
; IeeeMode: 1
; LDSByteSize: 2304 bytes/workgroup (compile time only)
; SGPRBlocks: 5
; VGPRBlocks: 4
; NumSGPRsForWavesPerEU: 42
; NumVGPRsForWavesPerEU: 38
; Occupancy: 16
; WaveLimiterHint : 1
; COMPUTE_PGM_RSRC2:SCRATCH_EN: 0
; COMPUTE_PGM_RSRC2:USER_SGPR: 15
; COMPUTE_PGM_RSRC2:TRAP_HANDLER: 0
; COMPUTE_PGM_RSRC2:TGID_X_EN: 1
; COMPUTE_PGM_RSRC2:TGID_Y_EN: 0
; COMPUTE_PGM_RSRC2:TGID_Z_EN: 0
; COMPUTE_PGM_RSRC2:TIDIG_COMP_CNT: 0
	.section	.text._ZN9rocsparseL29csrgeam_fill_multipass_kernelILj256ELj32Ell21rocsparse_complex_numIfEEEvllNS_24const_host_device_scalarIT3_EEPKT1_PKT2_PKS4_S5_S8_SB_SD_S8_PS9_PS4_21rocsparse_index_base_SG_SG_bbb,"axG",@progbits,_ZN9rocsparseL29csrgeam_fill_multipass_kernelILj256ELj32Ell21rocsparse_complex_numIfEEEvllNS_24const_host_device_scalarIT3_EEPKT1_PKT2_PKS4_S5_S8_SB_SD_S8_PS9_PS4_21rocsparse_index_base_SG_SG_bbb,comdat
	.globl	_ZN9rocsparseL29csrgeam_fill_multipass_kernelILj256ELj32Ell21rocsparse_complex_numIfEEEvllNS_24const_host_device_scalarIT3_EEPKT1_PKT2_PKS4_S5_S8_SB_SD_S8_PS9_PS4_21rocsparse_index_base_SG_SG_bbb ; -- Begin function _ZN9rocsparseL29csrgeam_fill_multipass_kernelILj256ELj32Ell21rocsparse_complex_numIfEEEvllNS_24const_host_device_scalarIT3_EEPKT1_PKT2_PKS4_S5_S8_SB_SD_S8_PS9_PS4_21rocsparse_index_base_SG_SG_bbb
	.p2align	8
	.type	_ZN9rocsparseL29csrgeam_fill_multipass_kernelILj256ELj32Ell21rocsparse_complex_numIfEEEvllNS_24const_host_device_scalarIT3_EEPKT1_PKT2_PKS4_S5_S8_SB_SD_S8_PS9_PS4_21rocsparse_index_base_SG_SG_bbb,@function
_ZN9rocsparseL29csrgeam_fill_multipass_kernelILj256ELj32Ell21rocsparse_complex_numIfEEEvllNS_24const_host_device_scalarIT3_EEPKT1_PKT2_PKS4_S5_S8_SB_SD_S8_PS9_PS4_21rocsparse_index_base_SG_SG_bbb: ; @_ZN9rocsparseL29csrgeam_fill_multipass_kernelILj256ELj32Ell21rocsparse_complex_numIfEEEvllNS_24const_host_device_scalarIT3_EEPKT1_PKT2_PKS4_S5_S8_SB_SD_S8_PS9_PS4_21rocsparse_index_base_SG_SG_bbb
; %bb.0:
	s_clause 0x5
	s_load_b32 s13, s[0:1], 0x74
	s_load_b64 s[2:3], s[0:1], 0x60
	s_load_b128 s[36:39], s[0:1], 0x68
	s_load_b256 s[4:11], s[0:1], 0x40
	s_load_b256 s[16:23], s[0:1], 0x0
	;; [unrolled: 1-line block ×3, first 2 shown]
	s_mov_b32 s12, 0
	s_mov_b32 s1, 0
	s_waitcnt lgkmcnt(0)
	s_bitcmp1_b32 s13, 16
	s_cselect_b32 s0, -1, 0
	s_delay_alu instid0(SALU_CYCLE_1) | instskip(SKIP_2) | instid1(VALU_DEP_1)
	s_xor_b32 s0, s0, -1
	s_bitcmp0_b32 s39, 0
	v_cndmask_b32_e64 v1, 0, 1, s0
	v_cmp_ne_u32_e32 vcc_lo, 1, v1
	s_cbranch_scc1 .LBB16_6
; %bb.1:
	s_and_b32 vcc_lo, exec_lo, vcc_lo
	s_mov_b32 s1, s20
	s_cbranch_vccnz .LBB16_3
; %bb.2:
	s_load_b32 s1, s[20:21], 0x0
.LBB16_3:
	s_and_not1_b32 vcc_lo, exec_lo, s0
	s_cbranch_vccnz .LBB16_5
; %bb.4:
	s_load_b32 s21, s[20:21], 0x4
.LBB16_5:
	s_waitcnt lgkmcnt(0)
	s_mov_b32 s12, s21
.LBB16_6:
	s_bfe_u32 s0, s13, 0x10008
	s_mov_b32 s14, 0
	s_cmp_eq_u32 s0, 0
	s_mov_b32 s13, 0
	s_cbranch_scc1 .LBB16_12
; %bb.7:
	v_cmp_ne_u32_e32 vcc_lo, 1, v1
	s_mov_b32 s13, s28
	s_cbranch_vccnz .LBB16_9
; %bb.8:
	s_load_b32 s13, s[28:29], 0x0
.LBB16_9:
	v_cmp_ne_u32_e32 vcc_lo, 1, v1
	s_cbranch_vccnz .LBB16_11
; %bb.10:
	s_load_b32 s29, s[28:29], 0x4
.LBB16_11:
	s_waitcnt lgkmcnt(0)
	s_mov_b32 s14, s29
.LBB16_12:
	v_lshrrev_b32_e32 v1, 5, v0
	s_lshl_b32 s0, s15, 3
	v_mov_b32_e32 v2, 0
	s_delay_alu instid0(VALU_DEP_2) | instskip(SKIP_1) | instid1(VALU_DEP_1)
	v_and_or_b32 v1, 0x7fffff8, s0, v1
	s_mov_b32 s0, exec_lo
	v_cmpx_gt_i64_e64 s[16:17], v[1:2]
	s_cbranch_execz .LBB16_41
; %bb.13:
	v_lshlrev_b32_e32 v9, 3, v1
	v_dual_mov_b32 v13, s18 :: v_dual_mov_b32 v14, s19
	s_mov_b32 s0, exec_lo
	s_clause 0x2
	global_load_b128 v[1:4], v9, s[22:23]
	global_load_b128 v[5:8], v9, s[30:31]
	global_load_b64 v[11:12], v9, s[8:9]
	s_waitcnt vmcnt(2)
	v_sub_co_u32 v9, vcc_lo, v1, s36
	v_subrev_co_ci_u32_e32 v10, vcc_lo, 0, v2, vcc_lo
	v_cmpx_lt_i64_e64 v[1:2], v[3:4]
	s_cbranch_execz .LBB16_15
; %bb.14:
	s_delay_alu instid0(VALU_DEP_2) | instskip(NEXT) | instid1(VALU_DEP_1)
	v_lshlrev_b64 v[1:2], 3, v[9:10]
	v_add_co_u32 v1, vcc_lo, s24, v1
	s_delay_alu instid0(VALU_DEP_2)
	v_add_co_ci_u32_e32 v2, vcc_lo, s25, v2, vcc_lo
	global_load_b64 v[1:2], v[1:2], off
	s_waitcnt vmcnt(0)
	v_sub_co_u32 v13, vcc_lo, v1, s36
	v_subrev_co_ci_u32_e32 v14, vcc_lo, 0, v2, vcc_lo
.LBB16_15:
	s_or_b32 exec_lo, exec_lo, s0
	s_waitcnt vmcnt(1)
	v_sub_co_u32 v15, vcc_lo, v5, s37
	v_subrev_co_ci_u32_e32 v16, vcc_lo, 0, v6, vcc_lo
	v_cmp_lt_i64_e32 vcc_lo, v[5:6], v[7:8]
	v_dual_mov_b32 v5, s18 :: v_dual_mov_b32 v6, s19
	s_mov_b32 s8, s37
	s_and_saveexec_b32 s0, vcc_lo
	s_cbranch_execz .LBB16_17
; %bb.16:
	v_lshlrev_b64 v[1:2], 3, v[15:16]
	s_delay_alu instid0(VALU_DEP_1) | instskip(NEXT) | instid1(VALU_DEP_2)
	v_add_co_u32 v1, vcc_lo, s4, v1
	v_add_co_ci_u32_e32 v2, vcc_lo, s5, v2, vcc_lo
	global_load_b64 v[1:2], v[1:2], off
	s_waitcnt vmcnt(0)
	v_sub_co_u32 v5, vcc_lo, v1, s8
	v_subrev_co_ci_u32_e32 v6, vcc_lo, 0, v2, vcc_lo
.LBB16_17:
	s_or_b32 exec_lo, exec_lo, s0
	v_and_b32_e32 v1, 0xe0, v0
	s_waitcnt vmcnt(0)
	v_sub_co_u32 v25, s0, v11, s38
	s_delay_alu instid0(VALU_DEP_1) | instskip(NEXT) | instid1(VALU_DEP_3)
	v_subrev_co_ci_u32_e64 v26, s0, 0, v12, s0
	v_or_b32_e32 v23, 0x800, v1
	v_lshlrev_b32_e32 v24, 3, v1
	v_sub_co_u32 v1, vcc_lo, v3, s36
	v_subrev_co_ci_u32_e32 v2, vcc_lo, 0, v4, vcc_lo
	v_sub_co_u32 v3, vcc_lo, v7, s8
	v_subrev_co_ci_u32_e32 v4, vcc_lo, 0, v8, vcc_lo
	v_cmp_lt_i64_e32 vcc_lo, v[5:6], v[13:14]
	s_add_u32 s10, s10, -8
	s_addc_u32 s11, s11, -1
	s_add_u32 s2, s2, -8
	s_addc_u32 s3, s3, -1
	s_add_u32 s15, s26, 4
	v_cndmask_b32_e32 v12, v14, v6, vcc_lo
	v_mbcnt_lo_u32_b32 v6, -1, 0
	v_cndmask_b32_e32 v11, v13, v5, vcc_lo
	v_mov_b32_e32 v5, 0
	s_addc_u32 s16, s27, 0
	s_add_u32 s6, s6, 4
	v_xor_b32_e32 v14, 8, v6
	v_and_b32_e32 v17, 31, v0
	v_xor_b32_e32 v18, 1, v6
	s_mov_b32 s9, 0
	s_addc_u32 s7, s7, 0
	v_mov_b32_e32 v36, 1
	v_xor_b32_e32 v13, 31, v17
	v_add_co_u32 v7, vcc_lo, v9, v17
	v_add_co_ci_u32_e32 v8, vcc_lo, 0, v10, vcc_lo
	s_delay_alu instid0(VALU_DEP_3) | instskip(SKIP_3) | instid1(VALU_DEP_3)
	v_lshrrev_b32_e64 v27, v13, -1
	v_xor_b32_e32 v13, 16, v6
	v_add_co_u32 v9, vcc_lo, v15, v17
	v_add_co_ci_u32_e32 v10, vcc_lo, 0, v16, vcc_lo
	v_cmp_gt_i32_e32 vcc_lo, 32, v13
	v_xor_b32_e32 v15, 4, v6
	v_xor_b32_e32 v16, 2, v6
	v_cndmask_b32_e32 v13, v6, v13, vcc_lo
	v_cmp_gt_i32_e32 vcc_lo, 32, v14
	v_cndmask_b32_e32 v14, v6, v14, vcc_lo
	v_cmp_gt_i32_e32 vcc_lo, 32, v15
	v_add_co_u32 v28, s0, s38, v17
	v_lshl_or_b32 v0, v17, 3, v24
	v_add_co_ci_u32_e64 v29, null, 0, 0, s0
	v_cndmask_b32_e32 v15, v6, v15, vcc_lo
	v_cmp_gt_i32_e32 vcc_lo, 32, v16
	v_lshlrev_b32_e32 v31, 2, v14
	v_add_nc_u32_e32 v35, v23, v17
	s_delay_alu instid0(VALU_DEP_4) | instskip(SKIP_3) | instid1(VALU_DEP_3)
	v_lshlrev_b32_e32 v32, 2, v15
	v_cndmask_b32_e32 v16, v6, v16, vcc_lo
	v_cmp_gt_i32_e32 vcc_lo, 32, v18
	v_lshlrev_b32_e32 v30, 2, v13
	v_dual_cndmask_b32 v6, v6, v18 :: v_dual_lshlrev_b32 v33, 2, v16
	s_delay_alu instid0(VALU_DEP_1)
	v_lshlrev_b32_e32 v34, 2, v6
	v_mov_b32_e32 v6, v5
	s_branch .LBB16_19
.LBB16_18:                              ;   in Loop: Header=BB16_19 Depth=1
	s_or_b32 exec_lo, exec_lo, s17
	ds_bpermute_b32 v11, v30, v13
	ds_bpermute_b32 v12, v30, v14
	s_waitcnt lgkmcnt(0)
	v_cmp_lt_i64_e64 s0, v[11:12], v[13:14]
	s_delay_alu instid0(VALU_DEP_1)
	v_cndmask_b32_e64 v12, v14, v12, s0
	v_cndmask_b32_e64 v11, v13, v11, s0
	ds_bpermute_b32 v14, v31, v12
	ds_bpermute_b32 v13, v31, v11
	s_waitcnt lgkmcnt(0)
	v_cmp_lt_i64_e64 s0, v[13:14], v[11:12]
	s_delay_alu instid0(VALU_DEP_1)
	v_cndmask_b32_e64 v12, v12, v14, s0
	v_cndmask_b32_e64 v11, v11, v13, s0
	;; [unrolled: 7-line block ×4, first 2 shown]
	ds_bpermute_b32 v14, v34, v12
	ds_bpermute_b32 v13, v34, v11
	s_waitcnt lgkmcnt(0)
	v_cmp_lt_i64_e64 s0, v[13:14], v[11:12]
	s_delay_alu instid0(VALU_DEP_1) | instskip(SKIP_2) | instid1(SALU_CYCLE_1)
	v_cndmask_b32_e64 v12, v12, v14, s0
	v_cndmask_b32_e64 v11, v11, v13, s0
	s_bcnt1_i32_b32 s0, vcc_lo
	v_add_co_u32 v25, s0, v25, s0
	s_delay_alu instid0(VALU_DEP_2) | instskip(SKIP_2) | instid1(SALU_CYCLE_1)
	v_cmp_le_i64_e32 vcc_lo, s[18:19], v[11:12]
	v_add_co_ci_u32_e64 v26, s0, 0, v26, s0
	s_or_b32 s9, vcc_lo, s9
	s_and_not1_b32 exec_lo, exec_lo, s9
	s_cbranch_execz .LBB16_41
.LBB16_19:                              ; =>This Loop Header: Depth=1
                                        ;     Child Loop BB16_22 Depth 2
                                        ;     Child Loop BB16_32 Depth 2
	v_dual_mov_b32 v13, s18 :: v_dual_mov_b32 v14, s19
	s_mov_b32 s17, exec_lo
	ds_store_b8 v35, v5
	ds_store_b64 v0, v[5:6]
	s_waitcnt lgkmcnt(0)
	buffer_gl0_inv
	v_cmpx_lt_i64_e64 v[7:8], v[1:2]
	s_cbranch_execz .LBB16_29
; %bb.20:                               ;   in Loop: Header=BB16_19 Depth=1
	v_lshlrev_b64 v[13:14], 3, v[7:8]
	s_mov_b32 s20, 0
	s_delay_alu instid0(VALU_DEP_1) | instskip(NEXT) | instid1(VALU_DEP_2)
	v_add_co_u32 v15, vcc_lo, s24, v13
	v_add_co_ci_u32_e32 v16, vcc_lo, s25, v14, vcc_lo
	v_add_co_u32 v17, vcc_lo, s15, v13
	v_add_co_ci_u32_e32 v18, vcc_lo, s16, v14, vcc_lo
	v_dual_mov_b32 v13, s18 :: v_dual_mov_b32 v14, s19
	s_branch .LBB16_22
.LBB16_21:                              ;   in Loop: Header=BB16_22 Depth=2
	s_or_b32 exec_lo, exec_lo, s21
	s_delay_alu instid0(SALU_CYCLE_1) | instskip(NEXT) | instid1(SALU_CYCLE_1)
	s_and_b32 s0, exec_lo, s0
	s_or_b32 s20, s0, s20
	s_delay_alu instid0(SALU_CYCLE_1)
	s_and_not1_b32 exec_lo, exec_lo, s20
	s_cbranch_execz .LBB16_28
.LBB16_22:                              ;   Parent Loop BB16_19 Depth=1
                                        ; =>  This Inner Loop Header: Depth=2
	global_load_b64 v[19:20], v[15:16], off
	s_mov_b32 s21, exec_lo
	s_waitcnt vmcnt(0)
	v_sub_co_u32 v21, vcc_lo, v19, s36
	v_subrev_co_ci_u32_e32 v22, vcc_lo, 0, v20, vcc_lo
	s_delay_alu instid0(VALU_DEP_2) | instskip(NEXT) | instid1(VALU_DEP_2)
	v_sub_co_u32 v19, vcc_lo, v21, v11
	v_sub_co_ci_u32_e32 v20, vcc_lo, v22, v12, vcc_lo
	s_delay_alu instid0(VALU_DEP_1)
	v_cmp_gt_i64_e32 vcc_lo, 32, v[19:20]
	v_cmpx_lt_i64_e32 31, v[19:20]
	s_xor_b32 s21, exec_lo, s21
	s_cbranch_execnz .LBB16_25
; %bb.23:                               ;   in Loop: Header=BB16_22 Depth=2
	s_and_not1_saveexec_b32 s0, s21
	s_cbranch_execnz .LBB16_26
.LBB16_24:                              ;   in Loop: Header=BB16_22 Depth=2
	s_or_b32 exec_lo, exec_lo, s0
	s_mov_b32 s0, -1
	s_and_saveexec_b32 s21, vcc_lo
	s_cbranch_execz .LBB16_21
	s_branch .LBB16_27
.LBB16_25:                              ;   in Loop: Header=BB16_22 Depth=2
	v_cmp_lt_i64_e64 s0, v[21:22], v[13:14]
                                        ; implicit-def: $vgpr19
	s_delay_alu instid0(VALU_DEP_1)
	v_cndmask_b32_e64 v14, v14, v22, s0
	v_cndmask_b32_e64 v13, v13, v21, s0
	s_and_not1_saveexec_b32 s0, s21
	s_cbranch_execz .LBB16_24
.LBB16_26:                              ;   in Loop: Header=BB16_22 Depth=2
	global_load_b64 v[20:21], v[17:18], off offset:-4
	s_waitcnt vmcnt(0)
	v_mul_f32_e64 v37, v21, -s12
	v_dual_mul_f32 v38, s1, v21 :: v_dual_add_nc_u32 v21, v23, v19
	v_lshl_add_u32 v19, v19, 3, v24
	s_delay_alu instid0(VALU_DEP_3) | instskip(NEXT) | instid1(VALU_DEP_3)
	v_fmac_f32_e32 v37, s1, v20
	v_fmac_f32_e32 v38, s12, v20
	ds_store_b8 v21, v36
	ds_store_b64 v19, v[37:38]
	s_or_b32 exec_lo, exec_lo, s0
	s_mov_b32 s0, -1
	s_and_saveexec_b32 s21, vcc_lo
	s_cbranch_execz .LBB16_21
.LBB16_27:                              ;   in Loop: Header=BB16_22 Depth=2
	v_add_co_u32 v7, vcc_lo, v7, 32
	v_add_co_ci_u32_e32 v8, vcc_lo, 0, v8, vcc_lo
	v_add_co_u32 v15, vcc_lo, 0x100, v15
	v_add_co_ci_u32_e32 v16, vcc_lo, 0, v16, vcc_lo
	s_delay_alu instid0(VALU_DEP_3) | instskip(SKIP_1) | instid1(VALU_DEP_1)
	v_cmp_ge_i64_e32 vcc_lo, v[7:8], v[1:2]
	v_add_co_u32 v17, s0, 0x100, v17
	v_add_co_ci_u32_e64 v18, s0, 0, v18, s0
	s_or_not1_b32 s0, vcc_lo, exec_lo
	s_branch .LBB16_21
.LBB16_28:                              ;   in Loop: Header=BB16_19 Depth=1
	s_or_b32 exec_lo, exec_lo, s20
.LBB16_29:                              ;   in Loop: Header=BB16_19 Depth=1
	s_delay_alu instid0(SALU_CYCLE_1) | instskip(NEXT) | instid1(SALU_CYCLE_1)
	s_or_b32 exec_lo, exec_lo, s17
	s_mov_b32 s17, exec_lo
	s_waitcnt lgkmcnt(0)
	buffer_gl0_inv
	v_cmpx_lt_i64_e64 v[9:10], v[3:4]
	s_cbranch_execz .LBB16_39
; %bb.30:                               ;   in Loop: Header=BB16_19 Depth=1
	v_lshlrev_b64 v[17:18], 3, v[9:10]
	s_mov_b32 s20, 0
	s_delay_alu instid0(VALU_DEP_1) | instskip(NEXT) | instid1(VALU_DEP_2)
	v_add_co_u32 v15, vcc_lo, s4, v17
	v_add_co_ci_u32_e32 v16, vcc_lo, s5, v18, vcc_lo
	v_add_co_u32 v17, vcc_lo, s6, v17
	v_add_co_ci_u32_e32 v18, vcc_lo, s7, v18, vcc_lo
	s_branch .LBB16_32
.LBB16_31:                              ;   in Loop: Header=BB16_32 Depth=2
	s_or_b32 exec_lo, exec_lo, s21
	s_delay_alu instid0(SALU_CYCLE_1) | instskip(NEXT) | instid1(SALU_CYCLE_1)
	s_and_b32 s0, exec_lo, s0
	s_or_b32 s20, s0, s20
	s_delay_alu instid0(SALU_CYCLE_1)
	s_and_not1_b32 exec_lo, exec_lo, s20
	s_cbranch_execz .LBB16_38
.LBB16_32:                              ;   Parent Loop BB16_19 Depth=1
                                        ; =>  This Inner Loop Header: Depth=2
	global_load_b64 v[19:20], v[15:16], off
	s_mov_b32 s21, exec_lo
	s_waitcnt vmcnt(0)
	v_sub_co_u32 v21, vcc_lo, v19, s8
	v_subrev_co_ci_u32_e32 v22, vcc_lo, 0, v20, vcc_lo
	s_delay_alu instid0(VALU_DEP_2) | instskip(NEXT) | instid1(VALU_DEP_2)
	v_sub_co_u32 v19, vcc_lo, v21, v11
	v_sub_co_ci_u32_e32 v20, vcc_lo, v22, v12, vcc_lo
	s_delay_alu instid0(VALU_DEP_1)
	v_cmp_gt_i64_e32 vcc_lo, 32, v[19:20]
	v_cmpx_lt_i64_e32 31, v[19:20]
	s_xor_b32 s21, exec_lo, s21
	s_cbranch_execnz .LBB16_35
; %bb.33:                               ;   in Loop: Header=BB16_32 Depth=2
	s_and_not1_saveexec_b32 s0, s21
	s_cbranch_execnz .LBB16_36
.LBB16_34:                              ;   in Loop: Header=BB16_32 Depth=2
	s_or_b32 exec_lo, exec_lo, s0
	s_mov_b32 s0, -1
	s_and_saveexec_b32 s21, vcc_lo
	s_cbranch_execz .LBB16_31
	s_branch .LBB16_37
.LBB16_35:                              ;   in Loop: Header=BB16_32 Depth=2
	v_cmp_lt_i64_e64 s0, v[21:22], v[13:14]
                                        ; implicit-def: $vgpr19
	s_delay_alu instid0(VALU_DEP_1)
	v_cndmask_b32_e64 v14, v14, v22, s0
	v_cndmask_b32_e64 v13, v13, v21, s0
	s_and_not1_saveexec_b32 s0, s21
	s_cbranch_execz .LBB16_34
.LBB16_36:                              ;   in Loop: Header=BB16_32 Depth=2
	global_load_b64 v[20:21], v[17:18], off offset:-4
	v_lshl_add_u32 v22, v19, 3, v24
	v_add_nc_u32_e32 v19, v23, v19
	ds_load_b64 v[37:38], v22
	s_waitcnt vmcnt(0) lgkmcnt(0)
	v_fma_f32 v37, s13, v20, v37
	v_fmac_f32_e32 v38, s14, v20
	s_delay_alu instid0(VALU_DEP_2) | instskip(NEXT) | instid1(VALU_DEP_2)
	v_fma_f32 v37, -s14, v21, v37
	v_fmac_f32_e32 v38, s13, v21
	ds_store_b8 v19, v36
	ds_store_b64 v22, v[37:38]
	s_or_b32 exec_lo, exec_lo, s0
	s_mov_b32 s0, -1
	s_and_saveexec_b32 s21, vcc_lo
	s_cbranch_execz .LBB16_31
.LBB16_37:                              ;   in Loop: Header=BB16_32 Depth=2
	v_add_co_u32 v9, vcc_lo, v9, 32
	v_add_co_ci_u32_e32 v10, vcc_lo, 0, v10, vcc_lo
	v_add_co_u32 v15, vcc_lo, 0x100, v15
	v_add_co_ci_u32_e32 v16, vcc_lo, 0, v16, vcc_lo
	s_delay_alu instid0(VALU_DEP_3) | instskip(SKIP_1) | instid1(VALU_DEP_1)
	v_cmp_ge_i64_e32 vcc_lo, v[9:10], v[3:4]
	v_add_co_u32 v17, s0, 0x100, v17
	v_add_co_ci_u32_e64 v18, s0, 0, v18, s0
	s_or_not1_b32 s0, vcc_lo, exec_lo
	s_branch .LBB16_31
.LBB16_38:                              ;   in Loop: Header=BB16_19 Depth=1
	s_or_b32 exec_lo, exec_lo, s20
.LBB16_39:                              ;   in Loop: Header=BB16_19 Depth=1
	s_delay_alu instid0(SALU_CYCLE_1)
	s_or_b32 exec_lo, exec_lo, s17
	s_waitcnt lgkmcnt(0)
	buffer_gl0_inv
	ds_load_u8 v15, v35
	s_mov_b32 s17, exec_lo
	s_waitcnt lgkmcnt(0)
	v_and_b32_e32 v16, 1, v15
	v_cmp_ne_u16_e32 vcc_lo, 0, v15
	s_delay_alu instid0(VALU_DEP_2)
	v_cmpx_eq_u32_e32 1, v16
	s_cbranch_execz .LBB16_18
; %bb.40:                               ;   in Loop: Header=BB16_19 Depth=1
	v_and_b32_e32 v15, vcc_lo, v27
	ds_load_b64 v[17:18], v0
	v_bcnt_u32_b32 v15, v15, 0
	s_delay_alu instid0(VALU_DEP_1) | instskip(NEXT) | instid1(VALU_DEP_1)
	v_add_co_u32 v15, s0, v25, v15
	v_add_co_ci_u32_e64 v16, s0, 0, v26, s0
	v_add_co_u32 v11, s0, v28, v11
	s_delay_alu instid0(VALU_DEP_1) | instskip(NEXT) | instid1(VALU_DEP_3)
	v_add_co_ci_u32_e64 v12, s0, v29, v12, s0
	v_lshlrev_b64 v[15:16], 3, v[15:16]
	s_delay_alu instid0(VALU_DEP_1) | instskip(NEXT) | instid1(VALU_DEP_1)
	v_add_co_u32 v19, s0, s10, v15
	v_add_co_ci_u32_e64 v20, s0, s11, v16, s0
	v_add_co_u32 v15, s0, s2, v15
	s_delay_alu instid0(VALU_DEP_1)
	v_add_co_ci_u32_e64 v16, s0, s3, v16, s0
	global_store_b64 v[19:20], v[11:12], off
	s_waitcnt lgkmcnt(0)
	global_store_b64 v[15:16], v[17:18], off
	s_branch .LBB16_18
.LBB16_41:
	s_nop 0
	s_sendmsg sendmsg(MSG_DEALLOC_VGPRS)
	s_endpgm
	.section	.rodata,"a",@progbits
	.p2align	6, 0x0
	.amdhsa_kernel _ZN9rocsparseL29csrgeam_fill_multipass_kernelILj256ELj32Ell21rocsparse_complex_numIfEEEvllNS_24const_host_device_scalarIT3_EEPKT1_PKT2_PKS4_S5_S8_SB_SD_S8_PS9_PS4_21rocsparse_index_base_SG_SG_bbb
		.amdhsa_group_segment_fixed_size 2304
		.amdhsa_private_segment_fixed_size 0
		.amdhsa_kernarg_size 120
		.amdhsa_user_sgpr_count 15
		.amdhsa_user_sgpr_dispatch_ptr 0
		.amdhsa_user_sgpr_queue_ptr 0
		.amdhsa_user_sgpr_kernarg_segment_ptr 1
		.amdhsa_user_sgpr_dispatch_id 0
		.amdhsa_user_sgpr_private_segment_size 0
		.amdhsa_wavefront_size32 1
		.amdhsa_uses_dynamic_stack 0
		.amdhsa_enable_private_segment 0
		.amdhsa_system_sgpr_workgroup_id_x 1
		.amdhsa_system_sgpr_workgroup_id_y 0
		.amdhsa_system_sgpr_workgroup_id_z 0
		.amdhsa_system_sgpr_workgroup_info 0
		.amdhsa_system_vgpr_workitem_id 0
		.amdhsa_next_free_vgpr 39
		.amdhsa_next_free_sgpr 40
		.amdhsa_reserve_vcc 1
		.amdhsa_float_round_mode_32 0
		.amdhsa_float_round_mode_16_64 0
		.amdhsa_float_denorm_mode_32 3
		.amdhsa_float_denorm_mode_16_64 3
		.amdhsa_dx10_clamp 1
		.amdhsa_ieee_mode 1
		.amdhsa_fp16_overflow 0
		.amdhsa_workgroup_processor_mode 1
		.amdhsa_memory_ordered 1
		.amdhsa_forward_progress 0
		.amdhsa_shared_vgpr_count 0
		.amdhsa_exception_fp_ieee_invalid_op 0
		.amdhsa_exception_fp_denorm_src 0
		.amdhsa_exception_fp_ieee_div_zero 0
		.amdhsa_exception_fp_ieee_overflow 0
		.amdhsa_exception_fp_ieee_underflow 0
		.amdhsa_exception_fp_ieee_inexact 0
		.amdhsa_exception_int_div_zero 0
	.end_amdhsa_kernel
	.section	.text._ZN9rocsparseL29csrgeam_fill_multipass_kernelILj256ELj32Ell21rocsparse_complex_numIfEEEvllNS_24const_host_device_scalarIT3_EEPKT1_PKT2_PKS4_S5_S8_SB_SD_S8_PS9_PS4_21rocsparse_index_base_SG_SG_bbb,"axG",@progbits,_ZN9rocsparseL29csrgeam_fill_multipass_kernelILj256ELj32Ell21rocsparse_complex_numIfEEEvllNS_24const_host_device_scalarIT3_EEPKT1_PKT2_PKS4_S5_S8_SB_SD_S8_PS9_PS4_21rocsparse_index_base_SG_SG_bbb,comdat
.Lfunc_end16:
	.size	_ZN9rocsparseL29csrgeam_fill_multipass_kernelILj256ELj32Ell21rocsparse_complex_numIfEEEvllNS_24const_host_device_scalarIT3_EEPKT1_PKT2_PKS4_S5_S8_SB_SD_S8_PS9_PS4_21rocsparse_index_base_SG_SG_bbb, .Lfunc_end16-_ZN9rocsparseL29csrgeam_fill_multipass_kernelILj256ELj32Ell21rocsparse_complex_numIfEEEvllNS_24const_host_device_scalarIT3_EEPKT1_PKT2_PKS4_S5_S8_SB_SD_S8_PS9_PS4_21rocsparse_index_base_SG_SG_bbb
                                        ; -- End function
	.section	.AMDGPU.csdata,"",@progbits
; Kernel info:
; codeLenInByte = 2064
; NumSgprs: 42
; NumVgprs: 39
; ScratchSize: 0
; MemoryBound: 0
; FloatMode: 240
; IeeeMode: 1
; LDSByteSize: 2304 bytes/workgroup (compile time only)
; SGPRBlocks: 5
; VGPRBlocks: 4
; NumSGPRsForWavesPerEU: 42
; NumVGPRsForWavesPerEU: 39
; Occupancy: 16
; WaveLimiterHint : 1
; COMPUTE_PGM_RSRC2:SCRATCH_EN: 0
; COMPUTE_PGM_RSRC2:USER_SGPR: 15
; COMPUTE_PGM_RSRC2:TRAP_HANDLER: 0
; COMPUTE_PGM_RSRC2:TGID_X_EN: 1
; COMPUTE_PGM_RSRC2:TGID_Y_EN: 0
; COMPUTE_PGM_RSRC2:TGID_Z_EN: 0
; COMPUTE_PGM_RSRC2:TIDIG_COMP_CNT: 0
	.section	.text._ZN9rocsparseL29csrgeam_fill_multipass_kernelILj256ELj64Ell21rocsparse_complex_numIfEEEvllNS_24const_host_device_scalarIT3_EEPKT1_PKT2_PKS4_S5_S8_SB_SD_S8_PS9_PS4_21rocsparse_index_base_SG_SG_bbb,"axG",@progbits,_ZN9rocsparseL29csrgeam_fill_multipass_kernelILj256ELj64Ell21rocsparse_complex_numIfEEEvllNS_24const_host_device_scalarIT3_EEPKT1_PKT2_PKS4_S5_S8_SB_SD_S8_PS9_PS4_21rocsparse_index_base_SG_SG_bbb,comdat
	.globl	_ZN9rocsparseL29csrgeam_fill_multipass_kernelILj256ELj64Ell21rocsparse_complex_numIfEEEvllNS_24const_host_device_scalarIT3_EEPKT1_PKT2_PKS4_S5_S8_SB_SD_S8_PS9_PS4_21rocsparse_index_base_SG_SG_bbb ; -- Begin function _ZN9rocsparseL29csrgeam_fill_multipass_kernelILj256ELj64Ell21rocsparse_complex_numIfEEEvllNS_24const_host_device_scalarIT3_EEPKT1_PKT2_PKS4_S5_S8_SB_SD_S8_PS9_PS4_21rocsparse_index_base_SG_SG_bbb
	.p2align	8
	.type	_ZN9rocsparseL29csrgeam_fill_multipass_kernelILj256ELj64Ell21rocsparse_complex_numIfEEEvllNS_24const_host_device_scalarIT3_EEPKT1_PKT2_PKS4_S5_S8_SB_SD_S8_PS9_PS4_21rocsparse_index_base_SG_SG_bbb,@function
_ZN9rocsparseL29csrgeam_fill_multipass_kernelILj256ELj64Ell21rocsparse_complex_numIfEEEvllNS_24const_host_device_scalarIT3_EEPKT1_PKT2_PKS4_S5_S8_SB_SD_S8_PS9_PS4_21rocsparse_index_base_SG_SG_bbb: ; @_ZN9rocsparseL29csrgeam_fill_multipass_kernelILj256ELj64Ell21rocsparse_complex_numIfEEEvllNS_24const_host_device_scalarIT3_EEPKT1_PKT2_PKS4_S5_S8_SB_SD_S8_PS9_PS4_21rocsparse_index_base_SG_SG_bbb
; %bb.0:
	s_clause 0x5
	s_load_b32 s13, s[0:1], 0x74
	s_load_b64 s[2:3], s[0:1], 0x60
	s_load_b128 s[36:39], s[0:1], 0x68
	s_load_b256 s[4:11], s[0:1], 0x40
	s_load_b256 s[16:23], s[0:1], 0x0
	;; [unrolled: 1-line block ×3, first 2 shown]
	s_mov_b32 s12, 0
	s_mov_b32 s1, 0
	s_waitcnt lgkmcnt(0)
	s_bitcmp1_b32 s13, 16
	s_cselect_b32 s0, -1, 0
	s_delay_alu instid0(SALU_CYCLE_1) | instskip(SKIP_2) | instid1(VALU_DEP_1)
	s_xor_b32 s0, s0, -1
	s_bitcmp0_b32 s39, 0
	v_cndmask_b32_e64 v1, 0, 1, s0
	v_cmp_ne_u32_e32 vcc_lo, 1, v1
	s_cbranch_scc1 .LBB17_6
; %bb.1:
	s_and_b32 vcc_lo, exec_lo, vcc_lo
	s_mov_b32 s1, s20
	s_cbranch_vccnz .LBB17_3
; %bb.2:
	s_load_b32 s1, s[20:21], 0x0
.LBB17_3:
	s_and_not1_b32 vcc_lo, exec_lo, s0
	s_cbranch_vccnz .LBB17_5
; %bb.4:
	s_load_b32 s21, s[20:21], 0x4
.LBB17_5:
	s_waitcnt lgkmcnt(0)
	s_mov_b32 s12, s21
.LBB17_6:
	s_bfe_u32 s0, s13, 0x10008
	s_mov_b32 s14, 0
	s_cmp_eq_u32 s0, 0
	s_mov_b32 s13, 0
	s_cbranch_scc1 .LBB17_12
; %bb.7:
	v_cmp_ne_u32_e32 vcc_lo, 1, v1
	s_mov_b32 s13, s28
	s_cbranch_vccnz .LBB17_9
; %bb.8:
	s_load_b32 s13, s[28:29], 0x0
.LBB17_9:
	v_cmp_ne_u32_e32 vcc_lo, 1, v1
	s_cbranch_vccnz .LBB17_11
; %bb.10:
	s_load_b32 s29, s[28:29], 0x4
.LBB17_11:
	s_waitcnt lgkmcnt(0)
	s_mov_b32 s14, s29
.LBB17_12:
	v_lshrrev_b32_e32 v1, 6, v0
	s_lshl_b32 s0, s15, 2
	v_mov_b32_e32 v2, 0
	s_delay_alu instid0(VALU_DEP_2) | instskip(SKIP_1) | instid1(VALU_DEP_1)
	v_and_or_b32 v1, 0x3fffffc, s0, v1
	s_mov_b32 s0, exec_lo
	v_cmpx_gt_i64_e64 s[16:17], v[1:2]
	s_cbranch_execz .LBB17_41
; %bb.13:
	v_lshlrev_b32_e32 v9, 3, v1
	v_dual_mov_b32 v13, s18 :: v_dual_mov_b32 v14, s19
	s_mov_b32 s0, exec_lo
	s_clause 0x2
	global_load_b128 v[1:4], v9, s[22:23]
	global_load_b128 v[5:8], v9, s[30:31]
	global_load_b64 v[11:12], v9, s[8:9]
	s_waitcnt vmcnt(2)
	v_sub_co_u32 v9, vcc_lo, v1, s36
	v_subrev_co_ci_u32_e32 v10, vcc_lo, 0, v2, vcc_lo
	v_cmpx_lt_i64_e64 v[1:2], v[3:4]
	s_cbranch_execz .LBB17_15
; %bb.14:
	s_delay_alu instid0(VALU_DEP_2) | instskip(NEXT) | instid1(VALU_DEP_1)
	v_lshlrev_b64 v[1:2], 3, v[9:10]
	v_add_co_u32 v1, vcc_lo, s24, v1
	s_delay_alu instid0(VALU_DEP_2)
	v_add_co_ci_u32_e32 v2, vcc_lo, s25, v2, vcc_lo
	global_load_b64 v[1:2], v[1:2], off
	s_waitcnt vmcnt(0)
	v_sub_co_u32 v13, vcc_lo, v1, s36
	v_subrev_co_ci_u32_e32 v14, vcc_lo, 0, v2, vcc_lo
.LBB17_15:
	s_or_b32 exec_lo, exec_lo, s0
	s_waitcnt vmcnt(1)
	v_sub_co_u32 v15, vcc_lo, v5, s37
	v_subrev_co_ci_u32_e32 v16, vcc_lo, 0, v6, vcc_lo
	v_cmp_lt_i64_e32 vcc_lo, v[5:6], v[7:8]
	v_dual_mov_b32 v5, s18 :: v_dual_mov_b32 v6, s19
	s_mov_b32 s8, s37
	s_and_saveexec_b32 s0, vcc_lo
	s_cbranch_execz .LBB17_17
; %bb.16:
	v_lshlrev_b64 v[1:2], 3, v[15:16]
	s_delay_alu instid0(VALU_DEP_1) | instskip(NEXT) | instid1(VALU_DEP_2)
	v_add_co_u32 v1, vcc_lo, s4, v1
	v_add_co_ci_u32_e32 v2, vcc_lo, s5, v2, vcc_lo
	global_load_b64 v[1:2], v[1:2], off
	s_waitcnt vmcnt(0)
	v_sub_co_u32 v5, vcc_lo, v1, s8
	v_subrev_co_ci_u32_e32 v6, vcc_lo, 0, v2, vcc_lo
.LBB17_17:
	s_or_b32 exec_lo, exec_lo, s0
	v_and_b32_e32 v1, 0xc0, v0
	s_waitcnt vmcnt(0)
	v_sub_co_u32 v27, s0, v11, s38
	s_add_u32 s10, s10, -8
	v_subrev_co_ci_u32_e64 v28, s0, 0, v12, s0
	v_or_b32_e32 v25, 0x800, v1
	v_lshlrev_b32_e32 v26, 3, v1
	v_sub_co_u32 v1, vcc_lo, v3, s36
	v_subrev_co_ci_u32_e32 v2, vcc_lo, 0, v4, vcc_lo
	v_sub_co_u32 v3, vcc_lo, v7, s8
	v_subrev_co_ci_u32_e32 v4, vcc_lo, 0, v8, vcc_lo
	v_cmp_lt_i64_e32 vcc_lo, v[5:6], v[13:14]
	s_addc_u32 s11, s11, -1
	s_add_u32 s2, s2, -8
	s_addc_u32 s3, s3, -1
	s_add_u32 s15, s26, 4
	s_addc_u32 s16, s27, 0
	v_cndmask_b32_e32 v14, v14, v6, vcc_lo
	v_mbcnt_lo_u32_b32 v6, -1, 0
	v_and_b32_e32 v17, 63, v0
	v_cndmask_b32_e32 v13, v13, v5, vcc_lo
	v_mov_b32_e32 v5, 0
	s_add_u32 s6, s6, 4
	v_or_b32_e32 v18, 32, v6
	v_add_co_u32 v7, vcc_lo, v9, v17
	v_add_co_ci_u32_e32 v8, vcc_lo, 0, v10, vcc_lo
	v_add_co_u32 v9, vcc_lo, v15, v17
	v_add_co_ci_u32_e32 v10, vcc_lo, 0, v16, vcc_lo
	v_cmp_gt_i32_e32 vcc_lo, 32, v18
	v_xor_b32_e32 v16, 16, v6
	v_xor_b32_e32 v19, 2, v6
	;; [unrolled: 1-line block ×3, first 2 shown]
	s_mov_b32 s9, 0
	v_cndmask_b32_e32 v15, v6, v18, vcc_lo
	v_cmp_gt_i32_e32 vcc_lo, 32, v16
	v_xor_b32_e32 v18, 4, v6
	s_addc_u32 s7, s7, 0
	s_delay_alu instid0(VALU_DEP_3) | instskip(SKIP_2) | instid1(VALU_DEP_2)
	v_dual_mov_b32 v37, 1 :: v_dual_lshlrev_b32 v30, 2, v15
	v_xor_b32_e32 v15, 8, v6
	v_cndmask_b32_e32 v16, v6, v16, vcc_lo
	v_cmp_gt_i32_e32 vcc_lo, 32, v15
	v_cndmask_b32_e32 v15, v6, v15, vcc_lo
	v_cmp_gt_i32_e32 vcc_lo, 32, v18
	v_cndmask_b32_e32 v18, v6, v18, vcc_lo
	v_add_nc_u32_e32 v36, v25, v17
	v_cmp_gt_i32_e32 vcc_lo, 32, v19
	v_xor_b32_e32 v11, 63, v17
	v_lshl_or_b32 v0, v17, 3, v26
	v_lshlrev_b32_e32 v32, 2, v15
	v_lshlrev_b32_e32 v33, 2, v18
	v_cndmask_b32_e32 v19, v6, v19, vcc_lo
	v_cmp_gt_i32_e32 vcc_lo, 32, v20
	v_lshrrev_b64 v[11:12], v11, -1
	v_add_co_u32 v12, s0, s38, v17
	s_delay_alu instid0(VALU_DEP_1) | instskip(SKIP_2) | instid1(VALU_DEP_2)
	v_add_co_ci_u32_e64 v29, null, 0, 0, s0
	v_cndmask_b32_e32 v6, v6, v20, vcc_lo
	v_lshlrev_b32_e32 v31, 2, v16
	v_dual_mov_b32 v6, v5 :: v_dual_lshlrev_b32 v35, 2, v6
	v_lshlrev_b32_e32 v34, 2, v19
	s_branch .LBB17_19
.LBB17_18:                              ;   in Loop: Header=BB17_19 Depth=1
	s_or_b32 exec_lo, exec_lo, s17
	ds_bpermute_b32 v13, v30, v15
	ds_bpermute_b32 v14, v30, v16
	s_waitcnt lgkmcnt(0)
	v_cmp_lt_i64_e64 s0, v[13:14], v[15:16]
	s_delay_alu instid0(VALU_DEP_1)
	v_cndmask_b32_e64 v14, v16, v14, s0
	v_cndmask_b32_e64 v13, v15, v13, s0
	ds_bpermute_b32 v16, v31, v14
	ds_bpermute_b32 v15, v31, v13
	s_waitcnt lgkmcnt(0)
	v_cmp_lt_i64_e64 s0, v[15:16], v[13:14]
	s_delay_alu instid0(VALU_DEP_1)
	v_cndmask_b32_e64 v14, v14, v16, s0
	v_cndmask_b32_e64 v13, v13, v15, s0
	;; [unrolled: 7-line block ×5, first 2 shown]
	ds_bpermute_b32 v16, v35, v14
	ds_bpermute_b32 v15, v35, v13
	s_waitcnt lgkmcnt(0)
	v_cmp_lt_i64_e64 s0, v[15:16], v[13:14]
	s_delay_alu instid0(VALU_DEP_1) | instskip(SKIP_2) | instid1(SALU_CYCLE_1)
	v_cndmask_b32_e64 v14, v14, v16, s0
	v_cndmask_b32_e64 v13, v13, v15, s0
	s_bcnt1_i32_b32 s0, vcc_lo
	v_add_co_u32 v27, s0, s0, v27
	s_delay_alu instid0(VALU_DEP_2) | instskip(SKIP_2) | instid1(SALU_CYCLE_1)
	v_cmp_le_i64_e32 vcc_lo, s[18:19], v[13:14]
	v_add_co_ci_u32_e64 v28, s0, 0, v28, s0
	s_or_b32 s9, vcc_lo, s9
	s_and_not1_b32 exec_lo, exec_lo, s9
	s_cbranch_execz .LBB17_41
.LBB17_19:                              ; =>This Loop Header: Depth=1
                                        ;     Child Loop BB17_22 Depth 2
                                        ;     Child Loop BB17_32 Depth 2
	v_dual_mov_b32 v15, s18 :: v_dual_mov_b32 v16, s19
	s_mov_b32 s17, exec_lo
	ds_store_b8 v36, v5
	ds_store_b64 v0, v[5:6]
	s_waitcnt lgkmcnt(0)
	buffer_gl0_inv
	v_cmpx_lt_i64_e64 v[7:8], v[1:2]
	s_cbranch_execz .LBB17_29
; %bb.20:                               ;   in Loop: Header=BB17_19 Depth=1
	v_lshlrev_b64 v[15:16], 3, v[7:8]
	s_mov_b32 s20, 0
	s_delay_alu instid0(VALU_DEP_1) | instskip(NEXT) | instid1(VALU_DEP_2)
	v_add_co_u32 v17, vcc_lo, s24, v15
	v_add_co_ci_u32_e32 v18, vcc_lo, s25, v16, vcc_lo
	v_add_co_u32 v19, vcc_lo, s15, v15
	v_add_co_ci_u32_e32 v20, vcc_lo, s16, v16, vcc_lo
	v_dual_mov_b32 v15, s18 :: v_dual_mov_b32 v16, s19
	s_branch .LBB17_22
.LBB17_21:                              ;   in Loop: Header=BB17_22 Depth=2
	s_or_b32 exec_lo, exec_lo, s21
	s_delay_alu instid0(SALU_CYCLE_1) | instskip(NEXT) | instid1(SALU_CYCLE_1)
	s_and_b32 s0, exec_lo, s0
	s_or_b32 s20, s0, s20
	s_delay_alu instid0(SALU_CYCLE_1)
	s_and_not1_b32 exec_lo, exec_lo, s20
	s_cbranch_execz .LBB17_28
.LBB17_22:                              ;   Parent Loop BB17_19 Depth=1
                                        ; =>  This Inner Loop Header: Depth=2
	global_load_b64 v[21:22], v[17:18], off
	s_mov_b32 s21, exec_lo
	s_waitcnt vmcnt(0)
	v_sub_co_u32 v23, vcc_lo, v21, s36
	v_subrev_co_ci_u32_e32 v24, vcc_lo, 0, v22, vcc_lo
	s_delay_alu instid0(VALU_DEP_2) | instskip(NEXT) | instid1(VALU_DEP_2)
	v_sub_co_u32 v21, vcc_lo, v23, v13
	v_sub_co_ci_u32_e32 v22, vcc_lo, v24, v14, vcc_lo
	s_delay_alu instid0(VALU_DEP_1)
	v_cmp_gt_i64_e32 vcc_lo, 64, v[21:22]
	v_cmpx_lt_i64_e32 63, v[21:22]
	s_xor_b32 s21, exec_lo, s21
	s_cbranch_execnz .LBB17_25
; %bb.23:                               ;   in Loop: Header=BB17_22 Depth=2
	s_and_not1_saveexec_b32 s0, s21
	s_cbranch_execnz .LBB17_26
.LBB17_24:                              ;   in Loop: Header=BB17_22 Depth=2
	s_or_b32 exec_lo, exec_lo, s0
	s_mov_b32 s0, -1
	s_and_saveexec_b32 s21, vcc_lo
	s_cbranch_execz .LBB17_21
	s_branch .LBB17_27
.LBB17_25:                              ;   in Loop: Header=BB17_22 Depth=2
	v_cmp_lt_i64_e64 s0, v[23:24], v[15:16]
                                        ; implicit-def: $vgpr21
	s_delay_alu instid0(VALU_DEP_1)
	v_cndmask_b32_e64 v16, v16, v24, s0
	v_cndmask_b32_e64 v15, v15, v23, s0
	s_and_not1_saveexec_b32 s0, s21
	s_cbranch_execz .LBB17_24
.LBB17_26:                              ;   in Loop: Header=BB17_22 Depth=2
	global_load_b64 v[22:23], v[19:20], off offset:-4
	s_waitcnt vmcnt(0)
	v_mul_f32_e64 v38, v23, -s12
	v_mul_f32_e32 v39, s1, v23
	v_add_nc_u32_e32 v23, v25, v21
	v_lshl_add_u32 v21, v21, 3, v26
	s_delay_alu instid0(VALU_DEP_4) | instskip(NEXT) | instid1(VALU_DEP_4)
	v_fmac_f32_e32 v38, s1, v22
	v_fmac_f32_e32 v39, s12, v22
	ds_store_b8 v23, v37
	ds_store_b64 v21, v[38:39]
	s_or_b32 exec_lo, exec_lo, s0
	s_mov_b32 s0, -1
	s_and_saveexec_b32 s21, vcc_lo
	s_cbranch_execz .LBB17_21
.LBB17_27:                              ;   in Loop: Header=BB17_22 Depth=2
	v_add_co_u32 v7, vcc_lo, v7, 64
	v_add_co_ci_u32_e32 v8, vcc_lo, 0, v8, vcc_lo
	v_add_co_u32 v17, vcc_lo, 0x200, v17
	v_add_co_ci_u32_e32 v18, vcc_lo, 0, v18, vcc_lo
	s_delay_alu instid0(VALU_DEP_3) | instskip(SKIP_1) | instid1(VALU_DEP_1)
	v_cmp_ge_i64_e32 vcc_lo, v[7:8], v[1:2]
	v_add_co_u32 v19, s0, 0x200, v19
	v_add_co_ci_u32_e64 v20, s0, 0, v20, s0
	s_or_not1_b32 s0, vcc_lo, exec_lo
	s_branch .LBB17_21
.LBB17_28:                              ;   in Loop: Header=BB17_19 Depth=1
	s_or_b32 exec_lo, exec_lo, s20
.LBB17_29:                              ;   in Loop: Header=BB17_19 Depth=1
	s_delay_alu instid0(SALU_CYCLE_1) | instskip(NEXT) | instid1(SALU_CYCLE_1)
	s_or_b32 exec_lo, exec_lo, s17
	s_mov_b32 s17, exec_lo
	s_waitcnt lgkmcnt(0)
	buffer_gl0_inv
	v_cmpx_lt_i64_e64 v[9:10], v[3:4]
	s_cbranch_execz .LBB17_39
; %bb.30:                               ;   in Loop: Header=BB17_19 Depth=1
	v_lshlrev_b64 v[19:20], 3, v[9:10]
	s_mov_b32 s20, 0
	s_delay_alu instid0(VALU_DEP_1) | instskip(NEXT) | instid1(VALU_DEP_2)
	v_add_co_u32 v17, vcc_lo, s4, v19
	v_add_co_ci_u32_e32 v18, vcc_lo, s5, v20, vcc_lo
	v_add_co_u32 v19, vcc_lo, s6, v19
	v_add_co_ci_u32_e32 v20, vcc_lo, s7, v20, vcc_lo
	s_branch .LBB17_32
.LBB17_31:                              ;   in Loop: Header=BB17_32 Depth=2
	s_or_b32 exec_lo, exec_lo, s21
	s_delay_alu instid0(SALU_CYCLE_1) | instskip(NEXT) | instid1(SALU_CYCLE_1)
	s_and_b32 s0, exec_lo, s0
	s_or_b32 s20, s0, s20
	s_delay_alu instid0(SALU_CYCLE_1)
	s_and_not1_b32 exec_lo, exec_lo, s20
	s_cbranch_execz .LBB17_38
.LBB17_32:                              ;   Parent Loop BB17_19 Depth=1
                                        ; =>  This Inner Loop Header: Depth=2
	global_load_b64 v[21:22], v[17:18], off
	s_mov_b32 s21, exec_lo
	s_waitcnt vmcnt(0)
	v_sub_co_u32 v23, vcc_lo, v21, s8
	v_subrev_co_ci_u32_e32 v24, vcc_lo, 0, v22, vcc_lo
	s_delay_alu instid0(VALU_DEP_2) | instskip(NEXT) | instid1(VALU_DEP_2)
	v_sub_co_u32 v21, vcc_lo, v23, v13
	v_sub_co_ci_u32_e32 v22, vcc_lo, v24, v14, vcc_lo
	s_delay_alu instid0(VALU_DEP_1)
	v_cmp_gt_i64_e32 vcc_lo, 64, v[21:22]
	v_cmpx_lt_i64_e32 63, v[21:22]
	s_xor_b32 s21, exec_lo, s21
	s_cbranch_execnz .LBB17_35
; %bb.33:                               ;   in Loop: Header=BB17_32 Depth=2
	s_and_not1_saveexec_b32 s0, s21
	s_cbranch_execnz .LBB17_36
.LBB17_34:                              ;   in Loop: Header=BB17_32 Depth=2
	s_or_b32 exec_lo, exec_lo, s0
	s_mov_b32 s0, -1
	s_and_saveexec_b32 s21, vcc_lo
	s_cbranch_execz .LBB17_31
	s_branch .LBB17_37
.LBB17_35:                              ;   in Loop: Header=BB17_32 Depth=2
	v_cmp_lt_i64_e64 s0, v[23:24], v[15:16]
                                        ; implicit-def: $vgpr21
	s_delay_alu instid0(VALU_DEP_1)
	v_cndmask_b32_e64 v16, v16, v24, s0
	v_cndmask_b32_e64 v15, v15, v23, s0
	s_and_not1_saveexec_b32 s0, s21
	s_cbranch_execz .LBB17_34
.LBB17_36:                              ;   in Loop: Header=BB17_32 Depth=2
	global_load_b64 v[22:23], v[19:20], off offset:-4
	v_lshl_add_u32 v24, v21, 3, v26
	v_add_nc_u32_e32 v21, v25, v21
	ds_load_b64 v[38:39], v24
	s_waitcnt vmcnt(0) lgkmcnt(0)
	v_fma_f32 v38, s13, v22, v38
	v_fmac_f32_e32 v39, s14, v22
	s_delay_alu instid0(VALU_DEP_2) | instskip(NEXT) | instid1(VALU_DEP_2)
	v_fma_f32 v38, -s14, v23, v38
	v_fmac_f32_e32 v39, s13, v23
	ds_store_b8 v21, v37
	ds_store_b64 v24, v[38:39]
	s_or_b32 exec_lo, exec_lo, s0
	s_mov_b32 s0, -1
	s_and_saveexec_b32 s21, vcc_lo
	s_cbranch_execz .LBB17_31
.LBB17_37:                              ;   in Loop: Header=BB17_32 Depth=2
	v_add_co_u32 v9, vcc_lo, v9, 64
	v_add_co_ci_u32_e32 v10, vcc_lo, 0, v10, vcc_lo
	v_add_co_u32 v17, vcc_lo, 0x200, v17
	v_add_co_ci_u32_e32 v18, vcc_lo, 0, v18, vcc_lo
	s_delay_alu instid0(VALU_DEP_3) | instskip(SKIP_1) | instid1(VALU_DEP_1)
	v_cmp_ge_i64_e32 vcc_lo, v[9:10], v[3:4]
	v_add_co_u32 v19, s0, 0x200, v19
	v_add_co_ci_u32_e64 v20, s0, 0, v20, s0
	s_or_not1_b32 s0, vcc_lo, exec_lo
	s_branch .LBB17_31
.LBB17_38:                              ;   in Loop: Header=BB17_19 Depth=1
	s_or_b32 exec_lo, exec_lo, s20
.LBB17_39:                              ;   in Loop: Header=BB17_19 Depth=1
	s_delay_alu instid0(SALU_CYCLE_1)
	s_or_b32 exec_lo, exec_lo, s17
	s_waitcnt lgkmcnt(0)
	buffer_gl0_inv
	ds_load_u8 v17, v36
	s_mov_b32 s17, exec_lo
	s_waitcnt lgkmcnt(0)
	v_and_b32_e32 v18, 1, v17
	v_cmp_ne_u16_e32 vcc_lo, 0, v17
	s_delay_alu instid0(VALU_DEP_2)
	v_cmpx_eq_u32_e32 1, v18
	s_cbranch_execz .LBB17_18
; %bb.40:                               ;   in Loop: Header=BB17_19 Depth=1
	v_and_b32_e32 v17, vcc_lo, v11
	ds_load_b64 v[19:20], v0
	v_bcnt_u32_b32 v17, v17, 0
	s_delay_alu instid0(VALU_DEP_1) | instskip(NEXT) | instid1(VALU_DEP_1)
	v_add_co_u32 v17, s0, v27, v17
	v_add_co_ci_u32_e64 v18, s0, 0, v28, s0
	v_add_co_u32 v13, s0, v12, v13
	s_delay_alu instid0(VALU_DEP_1) | instskip(NEXT) | instid1(VALU_DEP_3)
	v_add_co_ci_u32_e64 v14, s0, v29, v14, s0
	v_lshlrev_b64 v[17:18], 3, v[17:18]
	s_delay_alu instid0(VALU_DEP_1) | instskip(NEXT) | instid1(VALU_DEP_1)
	v_add_co_u32 v21, s0, s10, v17
	v_add_co_ci_u32_e64 v22, s0, s11, v18, s0
	v_add_co_u32 v17, s0, s2, v17
	s_delay_alu instid0(VALU_DEP_1)
	v_add_co_ci_u32_e64 v18, s0, s3, v18, s0
	global_store_b64 v[21:22], v[13:14], off
	s_waitcnt lgkmcnt(0)
	global_store_b64 v[17:18], v[19:20], off
	s_branch .LBB17_18
.LBB17_41:
	s_nop 0
	s_sendmsg sendmsg(MSG_DEALLOC_VGPRS)
	s_endpgm
	.section	.rodata,"a",@progbits
	.p2align	6, 0x0
	.amdhsa_kernel _ZN9rocsparseL29csrgeam_fill_multipass_kernelILj256ELj64Ell21rocsparse_complex_numIfEEEvllNS_24const_host_device_scalarIT3_EEPKT1_PKT2_PKS4_S5_S8_SB_SD_S8_PS9_PS4_21rocsparse_index_base_SG_SG_bbb
		.amdhsa_group_segment_fixed_size 2304
		.amdhsa_private_segment_fixed_size 0
		.amdhsa_kernarg_size 120
		.amdhsa_user_sgpr_count 15
		.amdhsa_user_sgpr_dispatch_ptr 0
		.amdhsa_user_sgpr_queue_ptr 0
		.amdhsa_user_sgpr_kernarg_segment_ptr 1
		.amdhsa_user_sgpr_dispatch_id 0
		.amdhsa_user_sgpr_private_segment_size 0
		.amdhsa_wavefront_size32 1
		.amdhsa_uses_dynamic_stack 0
		.amdhsa_enable_private_segment 0
		.amdhsa_system_sgpr_workgroup_id_x 1
		.amdhsa_system_sgpr_workgroup_id_y 0
		.amdhsa_system_sgpr_workgroup_id_z 0
		.amdhsa_system_sgpr_workgroup_info 0
		.amdhsa_system_vgpr_workitem_id 0
		.amdhsa_next_free_vgpr 40
		.amdhsa_next_free_sgpr 40
		.amdhsa_reserve_vcc 1
		.amdhsa_float_round_mode_32 0
		.amdhsa_float_round_mode_16_64 0
		.amdhsa_float_denorm_mode_32 3
		.amdhsa_float_denorm_mode_16_64 3
		.amdhsa_dx10_clamp 1
		.amdhsa_ieee_mode 1
		.amdhsa_fp16_overflow 0
		.amdhsa_workgroup_processor_mode 1
		.amdhsa_memory_ordered 1
		.amdhsa_forward_progress 0
		.amdhsa_shared_vgpr_count 0
		.amdhsa_exception_fp_ieee_invalid_op 0
		.amdhsa_exception_fp_denorm_src 0
		.amdhsa_exception_fp_ieee_div_zero 0
		.amdhsa_exception_fp_ieee_overflow 0
		.amdhsa_exception_fp_ieee_underflow 0
		.amdhsa_exception_fp_ieee_inexact 0
		.amdhsa_exception_int_div_zero 0
	.end_amdhsa_kernel
	.section	.text._ZN9rocsparseL29csrgeam_fill_multipass_kernelILj256ELj64Ell21rocsparse_complex_numIfEEEvllNS_24const_host_device_scalarIT3_EEPKT1_PKT2_PKS4_S5_S8_SB_SD_S8_PS9_PS4_21rocsparse_index_base_SG_SG_bbb,"axG",@progbits,_ZN9rocsparseL29csrgeam_fill_multipass_kernelILj256ELj64Ell21rocsparse_complex_numIfEEEvllNS_24const_host_device_scalarIT3_EEPKT1_PKT2_PKS4_S5_S8_SB_SD_S8_PS9_PS4_21rocsparse_index_base_SG_SG_bbb,comdat
.Lfunc_end17:
	.size	_ZN9rocsparseL29csrgeam_fill_multipass_kernelILj256ELj64Ell21rocsparse_complex_numIfEEEvllNS_24const_host_device_scalarIT3_EEPKT1_PKT2_PKS4_S5_S8_SB_SD_S8_PS9_PS4_21rocsparse_index_base_SG_SG_bbb, .Lfunc_end17-_ZN9rocsparseL29csrgeam_fill_multipass_kernelILj256ELj64Ell21rocsparse_complex_numIfEEEvllNS_24const_host_device_scalarIT3_EEPKT1_PKT2_PKS4_S5_S8_SB_SD_S8_PS9_PS4_21rocsparse_index_base_SG_SG_bbb
                                        ; -- End function
	.section	.AMDGPU.csdata,"",@progbits
; Kernel info:
; codeLenInByte = 2120
; NumSgprs: 42
; NumVgprs: 40
; ScratchSize: 0
; MemoryBound: 0
; FloatMode: 240
; IeeeMode: 1
; LDSByteSize: 2304 bytes/workgroup (compile time only)
; SGPRBlocks: 5
; VGPRBlocks: 4
; NumSGPRsForWavesPerEU: 42
; NumVGPRsForWavesPerEU: 40
; Occupancy: 16
; WaveLimiterHint : 1
; COMPUTE_PGM_RSRC2:SCRATCH_EN: 0
; COMPUTE_PGM_RSRC2:USER_SGPR: 15
; COMPUTE_PGM_RSRC2:TRAP_HANDLER: 0
; COMPUTE_PGM_RSRC2:TGID_X_EN: 1
; COMPUTE_PGM_RSRC2:TGID_Y_EN: 0
; COMPUTE_PGM_RSRC2:TGID_Z_EN: 0
; COMPUTE_PGM_RSRC2:TIDIG_COMP_CNT: 0
	.section	.text._ZN9rocsparseL29csrgeam_fill_multipass_kernelILj256ELj32Eii21rocsparse_complex_numIdEEEvllNS_24const_host_device_scalarIT3_EEPKT1_PKT2_PKS4_S5_S8_SB_SD_S8_PS9_PS4_21rocsparse_index_base_SG_SG_bbb,"axG",@progbits,_ZN9rocsparseL29csrgeam_fill_multipass_kernelILj256ELj32Eii21rocsparse_complex_numIdEEEvllNS_24const_host_device_scalarIT3_EEPKT1_PKT2_PKS4_S5_S8_SB_SD_S8_PS9_PS4_21rocsparse_index_base_SG_SG_bbb,comdat
	.globl	_ZN9rocsparseL29csrgeam_fill_multipass_kernelILj256ELj32Eii21rocsparse_complex_numIdEEEvllNS_24const_host_device_scalarIT3_EEPKT1_PKT2_PKS4_S5_S8_SB_SD_S8_PS9_PS4_21rocsparse_index_base_SG_SG_bbb ; -- Begin function _ZN9rocsparseL29csrgeam_fill_multipass_kernelILj256ELj32Eii21rocsparse_complex_numIdEEEvllNS_24const_host_device_scalarIT3_EEPKT1_PKT2_PKS4_S5_S8_SB_SD_S8_PS9_PS4_21rocsparse_index_base_SG_SG_bbb
	.p2align	8
	.type	_ZN9rocsparseL29csrgeam_fill_multipass_kernelILj256ELj32Eii21rocsparse_complex_numIdEEEvllNS_24const_host_device_scalarIT3_EEPKT1_PKT2_PKS4_S5_S8_SB_SD_S8_PS9_PS4_21rocsparse_index_base_SG_SG_bbb,@function
_ZN9rocsparseL29csrgeam_fill_multipass_kernelILj256ELj32Eii21rocsparse_complex_numIdEEEvllNS_24const_host_device_scalarIT3_EEPKT1_PKT2_PKS4_S5_S8_SB_SD_S8_PS9_PS4_21rocsparse_index_base_SG_SG_bbb: ; @_ZN9rocsparseL29csrgeam_fill_multipass_kernelILj256ELj32Eii21rocsparse_complex_numIdEEEvllNS_24const_host_device_scalarIT3_EEPKT1_PKT2_PKS4_S5_S8_SB_SD_S8_PS9_PS4_21rocsparse_index_base_SG_SG_bbb
; %bb.0:
	s_load_b32 s12, s[2:3], 0x84
	s_load_b64 s[24:25], s[0:1], 0x4
	s_load_b256 s[4:11], s[2:3], 0x0
	v_and_b32_e32 v16, 0x3ff, v0
	s_clause 0x1
	s_load_b128 s[20:23], s[2:3], 0x38
	s_load_b128 s[16:19], s[2:3], 0x78
	v_mov_b32_e32 v4, 0
	v_mov_b32_e32 v5, 0
	v_bfe_u32 v2, v0, 10, 10
	v_bfe_u32 v0, v0, 20, 10
	s_delay_alu instid0(VALU_DEP_3)
	v_dual_mov_b32 v7, v5 :: v_dual_mov_b32 v6, v4
	v_dual_mov_b32 v9, v5 :: v_dual_mov_b32 v8, v4
	s_waitcnt lgkmcnt(0)
	s_bitcmp1_b32 s12, 16
	s_cselect_b32 s0, -1, 0
	s_lshr_b32 s1, s24, 16
	s_delay_alu instid0(SALU_CYCLE_1) | instskip(NEXT) | instid1(SALU_CYCLE_1)
	s_mul_i32 s1, s1, s25
	v_mul_lo_u32 v1, s1, v16
	s_xor_b32 s1, s0, -1
	s_bitcmp0_b32 s19, 0
	v_cndmask_b32_e64 v3, 0, 1, s1
	s_delay_alu instid0(VALU_DEP_1) | instskip(NEXT) | instid1(VALU_DEP_3)
	v_cmp_ne_u32_e32 vcc_lo, 1, v3
	v_mad_u32_u24 v1, v2, s25, v1
	s_delay_alu instid0(VALU_DEP_1) | instskip(SKIP_2) | instid1(VALU_DEP_3)
	v_add_lshl_u32 v0, v1, v0, 3
	v_dual_mov_b32 v1, s8 :: v_dual_mov_b32 v10, s20
	v_dual_mov_b32 v2, s9 :: v_dual_mov_b32 v11, s21
	v_add_nc_u32_e32 v3, 0x100, v0
	ds_store_2addr_stride64_b64 v3, v[10:11], v[1:2] offset0:8 offset1:12
	s_cbranch_scc1 .LBB18_3
; %bb.1:
	s_mov_b64 s[24:25], src_shared_base
	s_and_b32 s13, s0, exec_lo
	s_cselect_b32 s13, s25, s9
	s_delay_alu instid0(SALU_CYCLE_1) | instskip(SKIP_2) | instid1(VALU_DEP_2)
	v_dual_mov_b32 v2, s13 :: v_dual_add_nc_u32 v1, 0x1900, v0
	v_dual_mov_b32 v8, s10 :: v_dual_mov_b32 v9, s11
	s_and_b32 vcc_lo, exec_lo, vcc_lo
	v_cndmask_b32_e64 v1, s8, v1, s0
	flat_load_b64 v[6:7], v[1:2]
	s_cbranch_vccnz .LBB18_3
; %bb.2:
	v_dual_mov_b32 v1, s8 :: v_dual_mov_b32 v2, s9
	flat_load_b64 v[8:9], v[1:2] offset:8
.LBB18_3:
	v_dual_mov_b32 v11, v5 :: v_dual_mov_b32 v10, v4
	s_bfe_u32 s8, s12, 0x10008
	s_delay_alu instid0(SALU_CYCLE_1)
	s_cmp_eq_u32 s8, 0
	s_cbranch_scc1 .LBB18_6
; %bb.4:
	s_mov_b64 s[8:9], src_shared_base
	s_and_b32 s8, s0, exec_lo
	s_cselect_b32 s8, s9, s21
	s_delay_alu instid0(SALU_CYCLE_1) | instskip(SKIP_2) | instid1(VALU_DEP_2)
	v_dual_mov_b32 v1, s8 :: v_dual_add_nc_u32 v0, 0x1100, v0
	v_dual_mov_b32 v4, s22 :: v_dual_mov_b32 v5, s23
	s_and_not1_b32 vcc_lo, exec_lo, s1
	v_cndmask_b32_e64 v0, s20, v0, s0
	flat_load_b64 v[10:11], v[0:1]
	s_cbranch_vccnz .LBB18_6
; %bb.5:
	v_dual_mov_b32 v0, s20 :: v_dual_mov_b32 v1, s21
	flat_load_b64 v[4:5], v[0:1] offset:8
.LBB18_6:
	v_lshrrev_b32_e32 v0, 5, v16
	s_lshl_b32 s0, s15, 3
	v_mov_b32_e32 v1, 0
	s_delay_alu instid0(VALU_DEP_2) | instskip(SKIP_1) | instid1(VALU_DEP_1)
	v_and_or_b32 v0, 0x7fffff8, s0, v0
	s_mov_b32 s0, exec_lo
	v_cmpx_gt_i64_e64 s[4:5], v[0:1]
	s_cbranch_execz .LBB18_35
; %bb.7:
	s_clause 0x2
	s_load_b128 s[8:11], s[2:3], 0x20
	s_load_b64 s[0:1], s[2:3], 0x48
	s_load_b64 s[4:5], s[2:3], 0x60
	v_lshlrev_b32_e32 v2, 2, v0
	s_waitcnt lgkmcnt(0)
	s_clause 0x2
	global_load_b64 v[12:13], v2, s[8:9]
	global_load_b64 v[0:1], v2, s[0:1]
	global_load_b32 v17, v2, s[4:5]
	s_mov_b32 s0, exec_lo
	s_waitcnt vmcnt(2)
	v_cmpx_ge_i32_e64 v12, v13
	s_xor_b32 s0, exec_lo, s0
	s_delay_alu instid0(SALU_CYCLE_1)
	s_or_saveexec_b32 s0, s0
	v_subrev_nc_u32_e32 v2, s16, v12
	v_mov_b32_e32 v3, s6
	s_xor_b32 exec_lo, exec_lo, s0
	s_cbranch_execz .LBB18_9
; %bb.8:
	s_delay_alu instid0(VALU_DEP_2) | instskip(NEXT) | instid1(VALU_DEP_1)
	v_ashrrev_i32_e32 v3, 31, v2
	v_lshlrev_b64 v[14:15], 2, v[2:3]
	s_delay_alu instid0(VALU_DEP_1) | instskip(NEXT) | instid1(VALU_DEP_2)
	v_add_co_u32 v14, vcc_lo, s10, v14
	v_add_co_ci_u32_e32 v15, vcc_lo, s11, v15, vcc_lo
	global_load_b32 v3, v[14:15], off
	s_waitcnt vmcnt(0)
	v_subrev_nc_u32_e32 v3, s16, v3
.LBB18_9:
	s_or_b32 exec_lo, exec_lo, s0
	s_load_b64 s[4:5], s[2:3], 0x50
	s_mov_b32 s0, exec_lo
	s_waitcnt vmcnt(1)
	v_cmpx_ge_i32_e64 v0, v1
	s_xor_b32 s0, exec_lo, s0
	s_delay_alu instid0(SALU_CYCLE_1)
	s_or_saveexec_b32 s0, s0
	s_clause 0x2
	s_load_b128 s[12:15], s[2:3], 0x68
	s_load_b64 s[8:9], s[2:3], 0x58
	s_load_b64 s[2:3], s[2:3], 0x30
	v_mov_b32_e32 v19, s6
	v_subrev_nc_u32_e32 v14, s17, v0
	v_mov_b32_e32 v0, s6
	s_xor_b32 exec_lo, exec_lo, s0
	s_cbranch_execz .LBB18_11
; %bb.10:
	s_delay_alu instid0(VALU_DEP_2) | instskip(NEXT) | instid1(VALU_DEP_1)
	v_ashrrev_i32_e32 v15, 31, v14
	v_lshlrev_b64 v[18:19], 2, v[14:15]
	s_waitcnt lgkmcnt(0)
	s_delay_alu instid0(VALU_DEP_1) | instskip(NEXT) | instid1(VALU_DEP_2)
	v_add_co_u32 v18, vcc_lo, s4, v18
	v_add_co_ci_u32_e32 v19, vcc_lo, s5, v19, vcc_lo
	global_load_b32 v0, v[18:19], off
	v_mov_b32_e32 v19, s6
	s_waitcnt vmcnt(0)
	v_subrev_nc_u32_e32 v0, s17, v0
.LBB18_11:
	s_or_b32 exec_lo, exec_lo, s0
	v_mbcnt_lo_u32_b32 v15, -1, 0
	v_subrev_nc_u32_e32 v20, s16, v13
	v_and_b32_e32 v13, 31, v16
	v_subrev_nc_u32_e32 v23, s17, v1
	s_waitcnt vmcnt(0)
	v_subrev_nc_u32_e32 v24, s18, v17
	v_xor_b32_e32 v1, 16, v15
	v_mov_b32_e32 v34, 1
	s_mov_b32 s1, 0
	v_mov_b32_e32 v18, 0
	s_delay_alu instid0(VALU_DEP_3)
	v_cmp_gt_i32_e32 vcc_lo, 32, v1
	v_and_b32_e32 v12, 0xe0, v16
	v_min_i32_e32 v16, v0, v3
	v_xor_b32_e32 v0, 31, v13
	v_xor_b32_e32 v3, 1, v15
	v_cndmask_b32_e32 v1, v15, v1, vcc_lo
	v_or_b32_e32 v21, 0x1000, v12
	s_delay_alu instid0(VALU_DEP_4) | instskip(SKIP_1) | instid1(VALU_DEP_4)
	v_lshrrev_b32_e64 v26, v0, -1
	v_xor_b32_e32 v0, 8, v15
	v_lshlrev_b32_e32 v28, 2, v1
	v_xor_b32_e32 v1, 4, v15
	s_delay_alu instid0(VALU_DEP_3) | instskip(SKIP_1) | instid1(VALU_DEP_3)
	v_cmp_gt_i32_e32 vcc_lo, 32, v0
	v_cndmask_b32_e32 v0, v15, v0, vcc_lo
	v_cmp_gt_i32_e32 vcc_lo, 32, v1
	v_lshlrev_b32_e32 v22, 4, v12
	v_add_nc_u32_e32 v12, v2, v13
	v_xor_b32_e32 v2, 2, v15
	v_cndmask_b32_e32 v1, v15, v1, vcc_lo
	s_delay_alu instid0(VALU_DEP_2) | instskip(NEXT) | instid1(VALU_DEP_2)
	v_cmp_gt_i32_e32 vcc_lo, 32, v2
	v_dual_mov_b32 v1, v18 :: v_dual_lshlrev_b32 v30, 2, v1
	v_cndmask_b32_e32 v2, v15, v2, vcc_lo
	v_cmp_gt_i32_e32 vcc_lo, 32, v3
	v_add_nc_u32_e32 v27, s18, v13
	v_add_nc_u32_e32 v14, v14, v13
	v_lshl_or_b32 v25, v13, 4, v22
	v_lshlrev_b32_e32 v31, 2, v2
	v_cndmask_b32_e32 v3, v15, v3, vcc_lo
	v_dual_mov_b32 v0, v18 :: v_dual_lshlrev_b32 v29, 2, v0
	v_dual_mov_b32 v2, v18 :: v_dual_add_nc_u32 v33, v21, v13
	s_delay_alu instid0(VALU_DEP_3)
	v_dual_mov_b32 v3, v18 :: v_dual_lshlrev_b32 v32, 2, v3
	s_branch .LBB18_13
.LBB18_12:                              ;   in Loop: Header=BB18_13 Depth=1
	s_or_b32 exec_lo, exec_lo, s18
	ds_bpermute_b32 v13, v28, v35
	s_bcnt1_i32_b32 s18, vcc_lo
	s_delay_alu instid0(SALU_CYCLE_1)
	v_add_nc_u32_e32 v24, s18, v24
	s_waitcnt lgkmcnt(0)
	v_min_i32_e32 v13, v13, v35
	ds_bpermute_b32 v15, v29, v13
	s_waitcnt lgkmcnt(0)
	v_min_i32_e32 v13, v15, v13
	ds_bpermute_b32 v15, v30, v13
	;; [unrolled: 3-line block ×4, first 2 shown]
	s_waitcnt lgkmcnt(0)
	v_min_i32_e32 v16, v15, v13
	s_delay_alu instid0(VALU_DEP_1) | instskip(NEXT) | instid1(VALU_DEP_1)
	v_ashrrev_i32_e32 v17, 31, v16
	v_cmp_le_i64_e64 s0, s[6:7], v[16:17]
	s_delay_alu instid0(VALU_DEP_1) | instskip(NEXT) | instid1(SALU_CYCLE_1)
	s_or_b32 s1, s0, s1
	s_and_not1_b32 exec_lo, exec_lo, s1
	s_cbranch_execz .LBB18_35
.LBB18_13:                              ; =>This Loop Header: Depth=1
                                        ;     Child Loop BB18_16 Depth 2
                                        ;     Child Loop BB18_26 Depth 2
	v_mov_b32_e32 v35, v19
	s_mov_b32 s18, exec_lo
	ds_store_b8 v33, v18
	ds_store_b128 v25, v[0:3]
	s_waitcnt lgkmcnt(0)
	buffer_gl0_inv
	v_cmpx_lt_i32_e64 v12, v20
	s_cbranch_execz .LBB18_23
; %bb.14:                               ;   in Loop: Header=BB18_13 Depth=1
	v_mov_b32_e32 v35, v19
	s_mov_b32 s19, 0
	s_branch .LBB18_16
.LBB18_15:                              ;   in Loop: Header=BB18_16 Depth=2
	s_or_b32 exec_lo, exec_lo, s20
	s_delay_alu instid0(SALU_CYCLE_1) | instskip(NEXT) | instid1(SALU_CYCLE_1)
	s_and_b32 s0, exec_lo, s0
	s_or_b32 s19, s0, s19
	s_delay_alu instid0(SALU_CYCLE_1)
	s_and_not1_b32 exec_lo, exec_lo, s19
	s_cbranch_execz .LBB18_22
.LBB18_16:                              ;   Parent Loop BB18_13 Depth=1
                                        ; =>  This Inner Loop Header: Depth=2
	v_ashrrev_i32_e32 v13, 31, v12
	s_delay_alu instid0(VALU_DEP_1) | instskip(NEXT) | instid1(VALU_DEP_1)
	v_lshlrev_b64 v[36:37], 2, v[12:13]
	v_add_co_u32 v36, vcc_lo, s10, v36
	s_delay_alu instid0(VALU_DEP_2) | instskip(SKIP_3) | instid1(VALU_DEP_1)
	v_add_co_ci_u32_e32 v37, vcc_lo, s11, v37, vcc_lo
	global_load_b32 v15, v[36:37], off
	s_waitcnt vmcnt(0)
	v_subrev_nc_u32_e32 v17, s16, v15
	v_sub_nc_u32_e32 v15, v17, v16
	s_delay_alu instid0(VALU_DEP_1) | instskip(SKIP_1) | instid1(VALU_DEP_1)
	v_cmp_gt_u32_e32 vcc_lo, 32, v15
	v_cmp_lt_u32_e64 s0, 31, v15
	s_and_saveexec_b32 s20, s0
	s_delay_alu instid0(SALU_CYCLE_1)
	s_xor_b32 s0, exec_lo, s20
	s_cbranch_execnz .LBB18_19
; %bb.17:                               ;   in Loop: Header=BB18_16 Depth=2
	s_and_not1_saveexec_b32 s20, s0
	s_cbranch_execnz .LBB18_20
.LBB18_18:                              ;   in Loop: Header=BB18_16 Depth=2
	s_or_b32 exec_lo, exec_lo, s20
	s_mov_b32 s0, -1
	s_and_saveexec_b32 s20, vcc_lo
	s_cbranch_execz .LBB18_15
	s_branch .LBB18_21
.LBB18_19:                              ;   in Loop: Header=BB18_16 Depth=2
	v_min_i32_e32 v35, v17, v35
                                        ; implicit-def: $vgpr15
	s_and_not1_saveexec_b32 s20, s0
	s_cbranch_execz .LBB18_18
.LBB18_20:                              ;   in Loop: Header=BB18_16 Depth=2
	v_lshlrev_b64 v[36:37], 4, v[12:13]
	v_add_nc_u32_e32 v13, v21, v15
	v_lshl_add_u32 v15, v15, 4, v22
	s_delay_alu instid0(VALU_DEP_3) | instskip(NEXT) | instid1(VALU_DEP_1)
	v_add_co_u32 v36, s0, s2, v36
	v_add_co_ci_u32_e64 v37, s0, s3, v37, s0
	global_load_b128 v[36:39], v[36:37], off
	s_waitcnt vmcnt(0)
	v_mul_f64 v[40:41], v[38:39], -v[8:9]
	v_mul_f64 v[42:43], v[6:7], v[38:39]
	s_delay_alu instid0(VALU_DEP_2) | instskip(NEXT) | instid1(VALU_DEP_2)
	v_fma_f64 v[38:39], v[6:7], v[36:37], v[40:41]
	v_fma_f64 v[40:41], v[8:9], v[36:37], v[42:43]
	ds_store_b8 v13, v34
	ds_store_b128 v15, v[38:41]
	s_or_b32 exec_lo, exec_lo, s20
	s_mov_b32 s0, -1
	s_and_saveexec_b32 s20, vcc_lo
	s_cbranch_execz .LBB18_15
.LBB18_21:                              ;   in Loop: Header=BB18_16 Depth=2
	v_add_nc_u32_e32 v12, 32, v12
	s_delay_alu instid0(VALU_DEP_1)
	v_cmp_ge_i32_e32 vcc_lo, v12, v20
	s_or_not1_b32 s0, vcc_lo, exec_lo
	s_branch .LBB18_15
.LBB18_22:                              ;   in Loop: Header=BB18_13 Depth=1
	s_or_b32 exec_lo, exec_lo, s19
.LBB18_23:                              ;   in Loop: Header=BB18_13 Depth=1
	s_delay_alu instid0(SALU_CYCLE_1) | instskip(NEXT) | instid1(SALU_CYCLE_1)
	s_or_b32 exec_lo, exec_lo, s18
	s_mov_b32 s18, exec_lo
	s_waitcnt lgkmcnt(0)
	buffer_gl0_inv
	v_cmpx_lt_i32_e64 v14, v23
	s_cbranch_execz .LBB18_33
; %bb.24:                               ;   in Loop: Header=BB18_13 Depth=1
	s_mov_b32 s19, 0
	s_branch .LBB18_26
.LBB18_25:                              ;   in Loop: Header=BB18_26 Depth=2
	s_or_b32 exec_lo, exec_lo, s20
	s_delay_alu instid0(SALU_CYCLE_1) | instskip(NEXT) | instid1(SALU_CYCLE_1)
	s_and_b32 s0, exec_lo, s0
	s_or_b32 s19, s0, s19
	s_delay_alu instid0(SALU_CYCLE_1)
	s_and_not1_b32 exec_lo, exec_lo, s19
	s_cbranch_execz .LBB18_32
.LBB18_26:                              ;   Parent Loop BB18_13 Depth=1
                                        ; =>  This Inner Loop Header: Depth=2
	v_ashrrev_i32_e32 v15, 31, v14
	s_delay_alu instid0(VALU_DEP_1) | instskip(NEXT) | instid1(VALU_DEP_1)
	v_lshlrev_b64 v[36:37], 2, v[14:15]
	v_add_co_u32 v36, vcc_lo, s4, v36
	s_delay_alu instid0(VALU_DEP_2) | instskip(SKIP_3) | instid1(VALU_DEP_1)
	v_add_co_ci_u32_e32 v37, vcc_lo, s5, v37, vcc_lo
	global_load_b32 v13, v[36:37], off
	s_waitcnt vmcnt(0)
	v_subrev_nc_u32_e32 v17, s17, v13
	v_sub_nc_u32_e32 v13, v17, v16
	s_delay_alu instid0(VALU_DEP_1) | instskip(SKIP_1) | instid1(VALU_DEP_1)
	v_cmp_gt_u32_e32 vcc_lo, 32, v13
	v_cmp_lt_u32_e64 s0, 31, v13
	s_and_saveexec_b32 s20, s0
	s_delay_alu instid0(SALU_CYCLE_1)
	s_xor_b32 s0, exec_lo, s20
	s_cbranch_execnz .LBB18_29
; %bb.27:                               ;   in Loop: Header=BB18_26 Depth=2
	s_and_not1_saveexec_b32 s20, s0
	s_cbranch_execnz .LBB18_30
.LBB18_28:                              ;   in Loop: Header=BB18_26 Depth=2
	s_or_b32 exec_lo, exec_lo, s20
	s_mov_b32 s0, -1
	s_and_saveexec_b32 s20, vcc_lo
	s_cbranch_execz .LBB18_25
	s_branch .LBB18_31
.LBB18_29:                              ;   in Loop: Header=BB18_26 Depth=2
	v_min_i32_e32 v35, v17, v35
                                        ; implicit-def: $vgpr13
	s_and_not1_saveexec_b32 s20, s0
	s_cbranch_execz .LBB18_28
.LBB18_30:                              ;   in Loop: Header=BB18_26 Depth=2
	v_lshlrev_b64 v[36:37], 4, v[14:15]
	v_lshl_add_u32 v15, v13, 4, v22
	v_add_nc_u32_e32 v13, v21, v13
	ds_load_b128 v[40:43], v15
	v_add_co_u32 v36, s0, s8, v36
	s_delay_alu instid0(VALU_DEP_1) | instskip(SKIP_4) | instid1(VALU_DEP_2)
	v_add_co_ci_u32_e64 v37, s0, s9, v37, s0
	global_load_b128 v[36:39], v[36:37], off
	s_waitcnt vmcnt(0) lgkmcnt(0)
	v_fma_f64 v[40:41], v[10:11], v[36:37], v[40:41]
	v_fma_f64 v[42:43], v[4:5], v[36:37], v[42:43]
	v_fma_f64 v[36:37], -v[4:5], v[38:39], v[40:41]
	s_delay_alu instid0(VALU_DEP_2)
	v_fma_f64 v[38:39], v[10:11], v[38:39], v[42:43]
	ds_store_b8 v13, v34
	ds_store_b128 v15, v[36:39]
	s_or_b32 exec_lo, exec_lo, s20
	s_mov_b32 s0, -1
	s_and_saveexec_b32 s20, vcc_lo
	s_cbranch_execz .LBB18_25
.LBB18_31:                              ;   in Loop: Header=BB18_26 Depth=2
	v_add_nc_u32_e32 v14, 32, v14
	s_delay_alu instid0(VALU_DEP_1)
	v_cmp_ge_i32_e32 vcc_lo, v14, v23
	s_or_not1_b32 s0, vcc_lo, exec_lo
	s_branch .LBB18_25
.LBB18_32:                              ;   in Loop: Header=BB18_13 Depth=1
	s_or_b32 exec_lo, exec_lo, s19
.LBB18_33:                              ;   in Loop: Header=BB18_13 Depth=1
	s_delay_alu instid0(SALU_CYCLE_1)
	s_or_b32 exec_lo, exec_lo, s18
	s_waitcnt lgkmcnt(0)
	buffer_gl0_inv
	ds_load_u8 v13, v33
	s_mov_b32 s18, exec_lo
	s_waitcnt lgkmcnt(0)
	v_and_b32_e32 v15, 1, v13
	v_cmp_ne_u16_e32 vcc_lo, 0, v13
	s_delay_alu instid0(VALU_DEP_2)
	v_cmpx_eq_u32_e32 1, v15
	s_cbranch_execz .LBB18_12
; %bb.34:                               ;   in Loop: Header=BB18_13 Depth=1
	v_and_b32_e32 v13, vcc_lo, v26
	ds_load_2addr_b64 v[36:39], v25 offset1:1
	v_bcnt_u32_b32 v13, v13, 0
	s_delay_alu instid0(VALU_DEP_1) | instskip(SKIP_1) | instid1(VALU_DEP_2)
	v_add3_u32 v17, v24, v13, -1
	v_add_nc_u32_e32 v13, v27, v16
	v_lshlrev_b64 v[40:41], 2, v[17:18]
	v_lshlrev_b64 v[15:16], 4, v[17:18]
	s_delay_alu instid0(VALU_DEP_2) | instskip(NEXT) | instid1(VALU_DEP_1)
	v_add_co_u32 v40, s0, s12, v40
	v_add_co_ci_u32_e64 v41, s0, s13, v41, s0
	s_delay_alu instid0(VALU_DEP_3) | instskip(NEXT) | instid1(VALU_DEP_1)
	v_add_co_u32 v15, s0, s14, v15
	v_add_co_ci_u32_e64 v16, s0, s15, v16, s0
	global_store_b32 v[40:41], v13, off
	s_waitcnt lgkmcnt(0)
	global_store_b128 v[15:16], v[36:39], off
	s_branch .LBB18_12
.LBB18_35:
	s_nop 0
	s_sendmsg sendmsg(MSG_DEALLOC_VGPRS)
	s_endpgm
	.section	.rodata,"a",@progbits
	.p2align	6, 0x0
	.amdhsa_kernel _ZN9rocsparseL29csrgeam_fill_multipass_kernelILj256ELj32Eii21rocsparse_complex_numIdEEEvllNS_24const_host_device_scalarIT3_EEPKT1_PKT2_PKS4_S5_S8_SB_SD_S8_PS9_PS4_21rocsparse_index_base_SG_SG_bbb
		.amdhsa_group_segment_fixed_size 8448
		.amdhsa_private_segment_fixed_size 0
		.amdhsa_kernarg_size 136
		.amdhsa_user_sgpr_count 15
		.amdhsa_user_sgpr_dispatch_ptr 1
		.amdhsa_user_sgpr_queue_ptr 0
		.amdhsa_user_sgpr_kernarg_segment_ptr 1
		.amdhsa_user_sgpr_dispatch_id 0
		.amdhsa_user_sgpr_private_segment_size 0
		.amdhsa_wavefront_size32 1
		.amdhsa_uses_dynamic_stack 0
		.amdhsa_enable_private_segment 0
		.amdhsa_system_sgpr_workgroup_id_x 1
		.amdhsa_system_sgpr_workgroup_id_y 0
		.amdhsa_system_sgpr_workgroup_id_z 0
		.amdhsa_system_sgpr_workgroup_info 0
		.amdhsa_system_vgpr_workitem_id 2
		.amdhsa_next_free_vgpr 44
		.amdhsa_next_free_sgpr 26
		.amdhsa_reserve_vcc 1
		.amdhsa_float_round_mode_32 0
		.amdhsa_float_round_mode_16_64 0
		.amdhsa_float_denorm_mode_32 3
		.amdhsa_float_denorm_mode_16_64 3
		.amdhsa_dx10_clamp 1
		.amdhsa_ieee_mode 1
		.amdhsa_fp16_overflow 0
		.amdhsa_workgroup_processor_mode 1
		.amdhsa_memory_ordered 1
		.amdhsa_forward_progress 0
		.amdhsa_shared_vgpr_count 0
		.amdhsa_exception_fp_ieee_invalid_op 0
		.amdhsa_exception_fp_denorm_src 0
		.amdhsa_exception_fp_ieee_div_zero 0
		.amdhsa_exception_fp_ieee_overflow 0
		.amdhsa_exception_fp_ieee_underflow 0
		.amdhsa_exception_fp_ieee_inexact 0
		.amdhsa_exception_int_div_zero 0
	.end_amdhsa_kernel
	.section	.text._ZN9rocsparseL29csrgeam_fill_multipass_kernelILj256ELj32Eii21rocsparse_complex_numIdEEEvllNS_24const_host_device_scalarIT3_EEPKT1_PKT2_PKS4_S5_S8_SB_SD_S8_PS9_PS4_21rocsparse_index_base_SG_SG_bbb,"axG",@progbits,_ZN9rocsparseL29csrgeam_fill_multipass_kernelILj256ELj32Eii21rocsparse_complex_numIdEEEvllNS_24const_host_device_scalarIT3_EEPKT1_PKT2_PKS4_S5_S8_SB_SD_S8_PS9_PS4_21rocsparse_index_base_SG_SG_bbb,comdat
.Lfunc_end18:
	.size	_ZN9rocsparseL29csrgeam_fill_multipass_kernelILj256ELj32Eii21rocsparse_complex_numIdEEEvllNS_24const_host_device_scalarIT3_EEPKT1_PKT2_PKS4_S5_S8_SB_SD_S8_PS9_PS4_21rocsparse_index_base_SG_SG_bbb, .Lfunc_end18-_ZN9rocsparseL29csrgeam_fill_multipass_kernelILj256ELj32Eii21rocsparse_complex_numIdEEEvllNS_24const_host_device_scalarIT3_EEPKT1_PKT2_PKS4_S5_S8_SB_SD_S8_PS9_PS4_21rocsparse_index_base_SG_SG_bbb
                                        ; -- End function
	.section	.AMDGPU.csdata,"",@progbits
; Kernel info:
; codeLenInByte = 1972
; NumSgprs: 28
; NumVgprs: 44
; ScratchSize: 0
; MemoryBound: 0
; FloatMode: 240
; IeeeMode: 1
; LDSByteSize: 8448 bytes/workgroup (compile time only)
; SGPRBlocks: 3
; VGPRBlocks: 5
; NumSGPRsForWavesPerEU: 28
; NumVGPRsForWavesPerEU: 44
; Occupancy: 16
; WaveLimiterHint : 1
; COMPUTE_PGM_RSRC2:SCRATCH_EN: 0
; COMPUTE_PGM_RSRC2:USER_SGPR: 15
; COMPUTE_PGM_RSRC2:TRAP_HANDLER: 0
; COMPUTE_PGM_RSRC2:TGID_X_EN: 1
; COMPUTE_PGM_RSRC2:TGID_Y_EN: 0
; COMPUTE_PGM_RSRC2:TGID_Z_EN: 0
; COMPUTE_PGM_RSRC2:TIDIG_COMP_CNT: 2
	.section	.text._ZN9rocsparseL29csrgeam_fill_multipass_kernelILj256ELj64Eii21rocsparse_complex_numIdEEEvllNS_24const_host_device_scalarIT3_EEPKT1_PKT2_PKS4_S5_S8_SB_SD_S8_PS9_PS4_21rocsparse_index_base_SG_SG_bbb,"axG",@progbits,_ZN9rocsparseL29csrgeam_fill_multipass_kernelILj256ELj64Eii21rocsparse_complex_numIdEEEvllNS_24const_host_device_scalarIT3_EEPKT1_PKT2_PKS4_S5_S8_SB_SD_S8_PS9_PS4_21rocsparse_index_base_SG_SG_bbb,comdat
	.globl	_ZN9rocsparseL29csrgeam_fill_multipass_kernelILj256ELj64Eii21rocsparse_complex_numIdEEEvllNS_24const_host_device_scalarIT3_EEPKT1_PKT2_PKS4_S5_S8_SB_SD_S8_PS9_PS4_21rocsparse_index_base_SG_SG_bbb ; -- Begin function _ZN9rocsparseL29csrgeam_fill_multipass_kernelILj256ELj64Eii21rocsparse_complex_numIdEEEvllNS_24const_host_device_scalarIT3_EEPKT1_PKT2_PKS4_S5_S8_SB_SD_S8_PS9_PS4_21rocsparse_index_base_SG_SG_bbb
	.p2align	8
	.type	_ZN9rocsparseL29csrgeam_fill_multipass_kernelILj256ELj64Eii21rocsparse_complex_numIdEEEvllNS_24const_host_device_scalarIT3_EEPKT1_PKT2_PKS4_S5_S8_SB_SD_S8_PS9_PS4_21rocsparse_index_base_SG_SG_bbb,@function
_ZN9rocsparseL29csrgeam_fill_multipass_kernelILj256ELj64Eii21rocsparse_complex_numIdEEEvllNS_24const_host_device_scalarIT3_EEPKT1_PKT2_PKS4_S5_S8_SB_SD_S8_PS9_PS4_21rocsparse_index_base_SG_SG_bbb: ; @_ZN9rocsparseL29csrgeam_fill_multipass_kernelILj256ELj64Eii21rocsparse_complex_numIdEEEvllNS_24const_host_device_scalarIT3_EEPKT1_PKT2_PKS4_S5_S8_SB_SD_S8_PS9_PS4_21rocsparse_index_base_SG_SG_bbb
; %bb.0:
	s_load_b32 s12, s[2:3], 0x84
	s_load_b64 s[24:25], s[0:1], 0x4
	s_load_b256 s[4:11], s[2:3], 0x0
	v_dual_mov_b32 v4, 0 :: v_dual_and_b32 v15, 0x3ff, v0
	s_clause 0x1
	s_load_b128 s[20:23], s[2:3], 0x38
	s_load_b128 s[16:19], s[2:3], 0x78
	v_bfe_u32 v2, v0, 10, 10
	v_bfe_u32 v0, v0, 20, 10
	v_mov_b32_e32 v5, 0
	s_waitcnt lgkmcnt(0)
	s_bitcmp1_b32 s12, 16
	s_cselect_b32 s0, -1, 0
	s_lshr_b32 s1, s24, 16
	s_delay_alu instid0(SALU_CYCLE_1)
	s_mul_i32 s1, s1, s25
	v_mov_b32_e32 v10, s20
	v_mul_lo_u32 v1, s1, v15
	s_xor_b32 s1, s0, -1
	s_bitcmp0_b32 s19, 0
	v_cndmask_b32_e64 v3, 0, 1, s1
	s_delay_alu instid0(VALU_DEP_2) | instskip(NEXT) | instid1(VALU_DEP_2)
	v_mad_u32_u24 v1, v2, s25, v1
	v_cmp_ne_u32_e32 vcc_lo, 1, v3
	s_delay_alu instid0(VALU_DEP_2)
	v_add_lshl_u32 v0, v1, v0, 3
	v_dual_mov_b32 v1, s8 :: v_dual_mov_b32 v2, s9
	v_mov_b32_e32 v7, v5
	v_mov_b32_e32 v9, v5
	v_dual_mov_b32 v11, s21 :: v_dual_mov_b32 v6, v4
	v_dual_mov_b32 v8, v4 :: v_dual_add_nc_u32 v3, 0x100, v0
	ds_store_2addr_stride64_b64 v3, v[10:11], v[1:2] offset0:8 offset1:12
	s_cbranch_scc1 .LBB19_3
; %bb.1:
	s_mov_b64 s[24:25], src_shared_base
	s_and_b32 s13, s0, exec_lo
	s_cselect_b32 s13, s25, s9
	s_delay_alu instid0(SALU_CYCLE_1) | instskip(SKIP_2) | instid1(VALU_DEP_2)
	v_dual_mov_b32 v2, s13 :: v_dual_add_nc_u32 v1, 0x1900, v0
	v_dual_mov_b32 v8, s10 :: v_dual_mov_b32 v9, s11
	s_and_b32 vcc_lo, exec_lo, vcc_lo
	v_cndmask_b32_e64 v1, s8, v1, s0
	flat_load_b64 v[6:7], v[1:2]
	s_cbranch_vccnz .LBB19_3
; %bb.2:
	v_dual_mov_b32 v1, s8 :: v_dual_mov_b32 v2, s9
	flat_load_b64 v[8:9], v[1:2] offset:8
.LBB19_3:
	v_dual_mov_b32 v11, v5 :: v_dual_mov_b32 v10, v4
	s_bfe_u32 s8, s12, 0x10008
	s_delay_alu instid0(SALU_CYCLE_1)
	s_cmp_eq_u32 s8, 0
	s_cbranch_scc1 .LBB19_6
; %bb.4:
	s_mov_b64 s[8:9], src_shared_base
	s_and_b32 s8, s0, exec_lo
	s_cselect_b32 s8, s9, s21
	s_delay_alu instid0(SALU_CYCLE_1) | instskip(SKIP_2) | instid1(VALU_DEP_2)
	v_dual_mov_b32 v1, s8 :: v_dual_add_nc_u32 v0, 0x1100, v0
	v_dual_mov_b32 v4, s22 :: v_dual_mov_b32 v5, s23
	s_and_not1_b32 vcc_lo, exec_lo, s1
	v_cndmask_b32_e64 v0, s20, v0, s0
	flat_load_b64 v[10:11], v[0:1]
	s_cbranch_vccnz .LBB19_6
; %bb.5:
	v_dual_mov_b32 v0, s20 :: v_dual_mov_b32 v1, s21
	flat_load_b64 v[4:5], v[0:1] offset:8
.LBB19_6:
	v_lshrrev_b32_e32 v0, 6, v15
	s_lshl_b32 s0, s15, 2
	v_mov_b32_e32 v1, 0
	s_delay_alu instid0(VALU_DEP_2) | instskip(SKIP_1) | instid1(VALU_DEP_1)
	v_and_or_b32 v0, 0x3fffffc, s0, v0
	s_mov_b32 s0, exec_lo
	v_cmpx_gt_i64_e64 s[4:5], v[0:1]
	s_cbranch_execz .LBB19_35
; %bb.7:
	s_clause 0x2
	s_load_b128 s[8:11], s[2:3], 0x20
	s_load_b64 s[0:1], s[2:3], 0x48
	s_load_b64 s[4:5], s[2:3], 0x60
	v_lshlrev_b32_e32 v12, 2, v0
	s_waitcnt lgkmcnt(0)
	s_clause 0x2
	global_load_b64 v[2:3], v12, s[8:9]
	global_load_b64 v[0:1], v12, s[0:1]
	global_load_b32 v16, v12, s[4:5]
	s_mov_b32 s0, exec_lo
	s_waitcnt vmcnt(2)
	v_cmpx_ge_i32_e64 v2, v3
	s_xor_b32 s0, exec_lo, s0
	s_delay_alu instid0(SALU_CYCLE_1)
	s_or_saveexec_b32 s0, s0
	v_subrev_nc_u32_e32 v12, s16, v2
	v_mov_b32_e32 v2, s6
	s_xor_b32 exec_lo, exec_lo, s0
	s_cbranch_execz .LBB19_9
; %bb.8:
	s_delay_alu instid0(VALU_DEP_2) | instskip(NEXT) | instid1(VALU_DEP_1)
	v_ashrrev_i32_e32 v13, 31, v12
	v_lshlrev_b64 v[13:14], 2, v[12:13]
	s_delay_alu instid0(VALU_DEP_1) | instskip(NEXT) | instid1(VALU_DEP_2)
	v_add_co_u32 v13, vcc_lo, s10, v13
	v_add_co_ci_u32_e32 v14, vcc_lo, s11, v14, vcc_lo
	global_load_b32 v2, v[13:14], off
	s_waitcnt vmcnt(0)
	v_subrev_nc_u32_e32 v2, s16, v2
.LBB19_9:
	s_or_b32 exec_lo, exec_lo, s0
	s_load_b64 s[4:5], s[2:3], 0x50
	s_mov_b32 s0, exec_lo
	s_waitcnt vmcnt(1)
	v_cmpx_ge_i32_e64 v0, v1
	s_xor_b32 s0, exec_lo, s0
	s_delay_alu instid0(SALU_CYCLE_1)
	s_or_saveexec_b32 s0, s0
	s_clause 0x2
	s_load_b128 s[12:15], s[2:3], 0x68
	s_load_b64 s[8:9], s[2:3], 0x58
	s_load_b64 s[2:3], s[2:3], 0x30
	v_mov_b32_e32 v21, s6
	v_subrev_nc_u32_e32 v13, s17, v0
	v_mov_b32_e32 v0, s6
	s_xor_b32 exec_lo, exec_lo, s0
	s_cbranch_execz .LBB19_11
; %bb.10:
	s_delay_alu instid0(VALU_DEP_2) | instskip(SKIP_1) | instid1(VALU_DEP_2)
	v_ashrrev_i32_e32 v14, 31, v13
	v_mov_b32_e32 v21, s6
	v_lshlrev_b64 v[17:18], 2, v[13:14]
	s_waitcnt lgkmcnt(0)
	s_delay_alu instid0(VALU_DEP_1) | instskip(NEXT) | instid1(VALU_DEP_2)
	v_add_co_u32 v17, vcc_lo, s4, v17
	v_add_co_ci_u32_e32 v18, vcc_lo, s5, v18, vcc_lo
	global_load_b32 v0, v[17:18], off
	s_waitcnt vmcnt(0)
	v_subrev_nc_u32_e32 v0, s17, v0
.LBB19_11:
	s_or_b32 exec_lo, exec_lo, s0
	v_and_b32_e32 v14, 0xc0, v15
	v_subrev_nc_u32_e32 v22, s16, v3
	v_and_b32_e32 v3, 63, v15
	v_mbcnt_lo_u32_b32 v15, -1, 0
	v_min_i32_e32 v18, v0, v2
	v_subrev_nc_u32_e32 v25, s17, v1
	s_waitcnt vmcnt(0)
	v_subrev_nc_u32_e32 v26, s18, v16
	v_mov_b32_e32 v20, 0
	v_or_b32_e32 v0, 32, v15
	v_xor_b32_e32 v1, 16, v15
	s_mov_b32 s1, 0
	v_mov_b32_e32 v35, 1
	s_delay_alu instid0(VALU_DEP_3) | instskip(SKIP_3) | instid1(VALU_DEP_3)
	v_cmp_gt_i32_e32 vcc_lo, 32, v0
	v_cndmask_b32_e32 v0, v15, v0, vcc_lo
	v_xor_b32_e32 v2, 63, v3
	v_cmp_gt_i32_e32 vcc_lo, 32, v1
	v_lshlrev_b32_e32 v28, 2, v0
	s_delay_alu instid0(VALU_DEP_3) | instskip(SKIP_4) | instid1(VALU_DEP_4)
	v_lshrrev_b64 v[16:17], v2, -1
	v_xor_b32_e32 v2, 8, v15
	v_cndmask_b32_e32 v1, v15, v1, vcc_lo
	v_xor_b32_e32 v0, 4, v15
	v_or_b32_e32 v23, 0x1000, v14
	v_cmp_gt_i32_e32 vcc_lo, 32, v2
	v_add_nc_u32_e32 v17, s18, v3
	s_delay_alu instid0(VALU_DEP_3) | instskip(SKIP_4) | instid1(VALU_DEP_4)
	v_add_nc_u32_e32 v34, v23, v3
	v_cndmask_b32_e32 v2, v15, v2, vcc_lo
	v_cmp_gt_i32_e32 vcc_lo, 32, v0
	v_lshlrev_b32_e32 v29, 2, v1
	v_xor_b32_e32 v1, 2, v15
	v_lshlrev_b32_e32 v30, 2, v2
	v_cndmask_b32_e32 v0, v15, v0, vcc_lo
	s_delay_alu instid0(VALU_DEP_3) | instskip(SKIP_1) | instid1(VALU_DEP_3)
	v_cmp_gt_i32_e32 vcc_lo, 32, v1
	v_lshlrev_b32_e32 v24, 4, v14
	v_lshlrev_b32_e32 v31, 2, v0
	v_add_nc_u32_e32 v14, v13, v3
	v_xor_b32_e32 v13, 1, v15
	v_cndmask_b32_e32 v1, v15, v1, vcc_lo
	v_lshl_or_b32 v27, v3, 4, v24
	v_mov_b32_e32 v2, v20
	v_mov_b32_e32 v0, v20
	v_cmp_gt_i32_e32 vcc_lo, 32, v13
	v_add_nc_u32_e32 v12, v12, v3
	v_dual_mov_b32 v1, v20 :: v_dual_lshlrev_b32 v32, 2, v1
	v_mov_b32_e32 v3, v20
	v_cndmask_b32_e32 v13, v15, v13, vcc_lo
	s_delay_alu instid0(VALU_DEP_1)
	v_lshlrev_b32_e32 v33, 2, v13
	s_branch .LBB19_13
.LBB19_12:                              ;   in Loop: Header=BB19_13 Depth=1
	s_or_b32 exec_lo, exec_lo, s18
	ds_bpermute_b32 v13, v28, v36
	s_bcnt1_i32_b32 s18, vcc_lo
	s_delay_alu instid0(SALU_CYCLE_1)
	v_add_nc_u32_e32 v26, s18, v26
	s_waitcnt lgkmcnt(0)
	v_min_i32_e32 v13, v13, v36
	ds_bpermute_b32 v15, v29, v13
	s_waitcnt lgkmcnt(0)
	v_min_i32_e32 v13, v15, v13
	ds_bpermute_b32 v15, v30, v13
	;; [unrolled: 3-line block ×5, first 2 shown]
	s_waitcnt lgkmcnt(0)
	v_min_i32_e32 v18, v15, v13
	s_delay_alu instid0(VALU_DEP_1) | instskip(NEXT) | instid1(VALU_DEP_1)
	v_ashrrev_i32_e32 v19, 31, v18
	v_cmp_le_i64_e64 s0, s[6:7], v[18:19]
	s_delay_alu instid0(VALU_DEP_1) | instskip(NEXT) | instid1(SALU_CYCLE_1)
	s_or_b32 s1, s0, s1
	s_and_not1_b32 exec_lo, exec_lo, s1
	s_cbranch_execz .LBB19_35
.LBB19_13:                              ; =>This Loop Header: Depth=1
                                        ;     Child Loop BB19_16 Depth 2
                                        ;     Child Loop BB19_26 Depth 2
	v_mov_b32_e32 v36, v21
	s_mov_b32 s18, exec_lo
	ds_store_b8 v34, v20
	ds_store_b128 v27, v[0:3]
	s_waitcnt lgkmcnt(0)
	buffer_gl0_inv
	v_cmpx_lt_i32_e64 v12, v22
	s_cbranch_execz .LBB19_23
; %bb.14:                               ;   in Loop: Header=BB19_13 Depth=1
	v_mov_b32_e32 v36, v21
	s_mov_b32 s19, 0
	s_branch .LBB19_16
.LBB19_15:                              ;   in Loop: Header=BB19_16 Depth=2
	s_or_b32 exec_lo, exec_lo, s20
	s_delay_alu instid0(SALU_CYCLE_1) | instskip(NEXT) | instid1(SALU_CYCLE_1)
	s_and_b32 s0, exec_lo, s0
	s_or_b32 s19, s0, s19
	s_delay_alu instid0(SALU_CYCLE_1)
	s_and_not1_b32 exec_lo, exec_lo, s19
	s_cbranch_execz .LBB19_22
.LBB19_16:                              ;   Parent Loop BB19_13 Depth=1
                                        ; =>  This Inner Loop Header: Depth=2
	v_ashrrev_i32_e32 v13, 31, v12
	s_delay_alu instid0(VALU_DEP_1) | instskip(NEXT) | instid1(VALU_DEP_1)
	v_lshlrev_b64 v[37:38], 2, v[12:13]
	v_add_co_u32 v37, vcc_lo, s10, v37
	s_delay_alu instid0(VALU_DEP_2) | instskip(SKIP_3) | instid1(VALU_DEP_1)
	v_add_co_ci_u32_e32 v38, vcc_lo, s11, v38, vcc_lo
	global_load_b32 v15, v[37:38], off
	s_waitcnt vmcnt(0)
	v_subrev_nc_u32_e32 v19, s16, v15
	v_sub_nc_u32_e32 v15, v19, v18
	s_delay_alu instid0(VALU_DEP_1) | instskip(SKIP_1) | instid1(VALU_DEP_1)
	v_cmp_gt_u32_e32 vcc_lo, 64, v15
	v_cmp_lt_u32_e64 s0, 63, v15
	s_and_saveexec_b32 s20, s0
	s_delay_alu instid0(SALU_CYCLE_1)
	s_xor_b32 s0, exec_lo, s20
	s_cbranch_execnz .LBB19_19
; %bb.17:                               ;   in Loop: Header=BB19_16 Depth=2
	s_and_not1_saveexec_b32 s20, s0
	s_cbranch_execnz .LBB19_20
.LBB19_18:                              ;   in Loop: Header=BB19_16 Depth=2
	s_or_b32 exec_lo, exec_lo, s20
	s_mov_b32 s0, -1
	s_and_saveexec_b32 s20, vcc_lo
	s_cbranch_execz .LBB19_15
	s_branch .LBB19_21
.LBB19_19:                              ;   in Loop: Header=BB19_16 Depth=2
	v_min_i32_e32 v36, v19, v36
                                        ; implicit-def: $vgpr15
	s_and_not1_saveexec_b32 s20, s0
	s_cbranch_execz .LBB19_18
.LBB19_20:                              ;   in Loop: Header=BB19_16 Depth=2
	v_lshlrev_b64 v[37:38], 4, v[12:13]
	v_add_nc_u32_e32 v13, v23, v15
	v_lshl_add_u32 v15, v15, 4, v24
	s_delay_alu instid0(VALU_DEP_3) | instskip(NEXT) | instid1(VALU_DEP_1)
	v_add_co_u32 v37, s0, s2, v37
	v_add_co_ci_u32_e64 v38, s0, s3, v38, s0
	global_load_b128 v[37:40], v[37:38], off
	s_waitcnt vmcnt(0)
	v_mul_f64 v[41:42], v[39:40], -v[8:9]
	v_mul_f64 v[43:44], v[6:7], v[39:40]
	s_delay_alu instid0(VALU_DEP_2) | instskip(NEXT) | instid1(VALU_DEP_2)
	v_fma_f64 v[39:40], v[6:7], v[37:38], v[41:42]
	v_fma_f64 v[41:42], v[8:9], v[37:38], v[43:44]
	ds_store_b8 v13, v35
	ds_store_b128 v15, v[39:42]
	s_or_b32 exec_lo, exec_lo, s20
	s_mov_b32 s0, -1
	s_and_saveexec_b32 s20, vcc_lo
	s_cbranch_execz .LBB19_15
.LBB19_21:                              ;   in Loop: Header=BB19_16 Depth=2
	v_add_nc_u32_e32 v12, 64, v12
	s_delay_alu instid0(VALU_DEP_1)
	v_cmp_ge_i32_e32 vcc_lo, v12, v22
	s_or_not1_b32 s0, vcc_lo, exec_lo
	s_branch .LBB19_15
.LBB19_22:                              ;   in Loop: Header=BB19_13 Depth=1
	s_or_b32 exec_lo, exec_lo, s19
.LBB19_23:                              ;   in Loop: Header=BB19_13 Depth=1
	s_delay_alu instid0(SALU_CYCLE_1) | instskip(NEXT) | instid1(SALU_CYCLE_1)
	s_or_b32 exec_lo, exec_lo, s18
	s_mov_b32 s18, exec_lo
	s_waitcnt lgkmcnt(0)
	buffer_gl0_inv
	v_cmpx_lt_i32_e64 v14, v25
	s_cbranch_execz .LBB19_33
; %bb.24:                               ;   in Loop: Header=BB19_13 Depth=1
	s_mov_b32 s19, 0
	s_branch .LBB19_26
.LBB19_25:                              ;   in Loop: Header=BB19_26 Depth=2
	s_or_b32 exec_lo, exec_lo, s20
	s_delay_alu instid0(SALU_CYCLE_1) | instskip(NEXT) | instid1(SALU_CYCLE_1)
	s_and_b32 s0, exec_lo, s0
	s_or_b32 s19, s0, s19
	s_delay_alu instid0(SALU_CYCLE_1)
	s_and_not1_b32 exec_lo, exec_lo, s19
	s_cbranch_execz .LBB19_32
.LBB19_26:                              ;   Parent Loop BB19_13 Depth=1
                                        ; =>  This Inner Loop Header: Depth=2
	v_ashrrev_i32_e32 v15, 31, v14
	s_delay_alu instid0(VALU_DEP_1) | instskip(NEXT) | instid1(VALU_DEP_1)
	v_lshlrev_b64 v[37:38], 2, v[14:15]
	v_add_co_u32 v37, vcc_lo, s4, v37
	s_delay_alu instid0(VALU_DEP_2) | instskip(SKIP_3) | instid1(VALU_DEP_1)
	v_add_co_ci_u32_e32 v38, vcc_lo, s5, v38, vcc_lo
	global_load_b32 v13, v[37:38], off
	s_waitcnt vmcnt(0)
	v_subrev_nc_u32_e32 v19, s17, v13
	v_sub_nc_u32_e32 v13, v19, v18
	s_delay_alu instid0(VALU_DEP_1) | instskip(SKIP_1) | instid1(VALU_DEP_1)
	v_cmp_gt_u32_e32 vcc_lo, 64, v13
	v_cmp_lt_u32_e64 s0, 63, v13
	s_and_saveexec_b32 s20, s0
	s_delay_alu instid0(SALU_CYCLE_1)
	s_xor_b32 s0, exec_lo, s20
	s_cbranch_execnz .LBB19_29
; %bb.27:                               ;   in Loop: Header=BB19_26 Depth=2
	s_and_not1_saveexec_b32 s20, s0
	s_cbranch_execnz .LBB19_30
.LBB19_28:                              ;   in Loop: Header=BB19_26 Depth=2
	s_or_b32 exec_lo, exec_lo, s20
	s_mov_b32 s0, -1
	s_and_saveexec_b32 s20, vcc_lo
	s_cbranch_execz .LBB19_25
	s_branch .LBB19_31
.LBB19_29:                              ;   in Loop: Header=BB19_26 Depth=2
	v_min_i32_e32 v36, v19, v36
                                        ; implicit-def: $vgpr13
	s_and_not1_saveexec_b32 s20, s0
	s_cbranch_execz .LBB19_28
.LBB19_30:                              ;   in Loop: Header=BB19_26 Depth=2
	v_lshlrev_b64 v[37:38], 4, v[14:15]
	v_lshl_add_u32 v15, v13, 4, v24
	v_add_nc_u32_e32 v13, v23, v13
	ds_load_b128 v[41:44], v15
	v_add_co_u32 v37, s0, s8, v37
	s_delay_alu instid0(VALU_DEP_1) | instskip(SKIP_4) | instid1(VALU_DEP_2)
	v_add_co_ci_u32_e64 v38, s0, s9, v38, s0
	global_load_b128 v[37:40], v[37:38], off
	s_waitcnt vmcnt(0) lgkmcnt(0)
	v_fma_f64 v[41:42], v[10:11], v[37:38], v[41:42]
	v_fma_f64 v[43:44], v[4:5], v[37:38], v[43:44]
	v_fma_f64 v[37:38], -v[4:5], v[39:40], v[41:42]
	s_delay_alu instid0(VALU_DEP_2)
	v_fma_f64 v[39:40], v[10:11], v[39:40], v[43:44]
	ds_store_b8 v13, v35
	ds_store_b128 v15, v[37:40]
	s_or_b32 exec_lo, exec_lo, s20
	s_mov_b32 s0, -1
	s_and_saveexec_b32 s20, vcc_lo
	s_cbranch_execz .LBB19_25
.LBB19_31:                              ;   in Loop: Header=BB19_26 Depth=2
	v_add_nc_u32_e32 v14, 64, v14
	s_delay_alu instid0(VALU_DEP_1)
	v_cmp_ge_i32_e32 vcc_lo, v14, v25
	s_or_not1_b32 s0, vcc_lo, exec_lo
	s_branch .LBB19_25
.LBB19_32:                              ;   in Loop: Header=BB19_13 Depth=1
	s_or_b32 exec_lo, exec_lo, s19
.LBB19_33:                              ;   in Loop: Header=BB19_13 Depth=1
	s_delay_alu instid0(SALU_CYCLE_1)
	s_or_b32 exec_lo, exec_lo, s18
	s_waitcnt lgkmcnt(0)
	buffer_gl0_inv
	ds_load_u8 v13, v34
	s_mov_b32 s18, exec_lo
	s_waitcnt lgkmcnt(0)
	v_and_b32_e32 v15, 1, v13
	v_cmp_ne_u16_e32 vcc_lo, 0, v13
	s_delay_alu instid0(VALU_DEP_2)
	v_cmpx_eq_u32_e32 1, v15
	s_cbranch_execz .LBB19_12
; %bb.34:                               ;   in Loop: Header=BB19_13 Depth=1
	v_and_b32_e32 v13, vcc_lo, v16
	ds_load_2addr_b64 v[37:40], v27 offset1:1
	v_bcnt_u32_b32 v13, v13, 0
	s_delay_alu instid0(VALU_DEP_1) | instskip(SKIP_1) | instid1(VALU_DEP_2)
	v_add3_u32 v19, v26, v13, -1
	v_add_nc_u32_e32 v13, v17, v18
	v_lshlrev_b64 v[41:42], 2, v[19:20]
	v_lshlrev_b64 v[18:19], 4, v[19:20]
	s_delay_alu instid0(VALU_DEP_2) | instskip(NEXT) | instid1(VALU_DEP_1)
	v_add_co_u32 v41, s0, s12, v41
	v_add_co_ci_u32_e64 v42, s0, s13, v42, s0
	s_delay_alu instid0(VALU_DEP_3) | instskip(NEXT) | instid1(VALU_DEP_1)
	v_add_co_u32 v18, s0, s14, v18
	v_add_co_ci_u32_e64 v19, s0, s15, v19, s0
	global_store_b32 v[41:42], v13, off
	s_waitcnt lgkmcnt(0)
	global_store_b128 v[18:19], v[37:40], off
	s_branch .LBB19_12
.LBB19_35:
	s_nop 0
	s_sendmsg sendmsg(MSG_DEALLOC_VGPRS)
	s_endpgm
	.section	.rodata,"a",@progbits
	.p2align	6, 0x0
	.amdhsa_kernel _ZN9rocsparseL29csrgeam_fill_multipass_kernelILj256ELj64Eii21rocsparse_complex_numIdEEEvllNS_24const_host_device_scalarIT3_EEPKT1_PKT2_PKS4_S5_S8_SB_SD_S8_PS9_PS4_21rocsparse_index_base_SG_SG_bbb
		.amdhsa_group_segment_fixed_size 8448
		.amdhsa_private_segment_fixed_size 0
		.amdhsa_kernarg_size 136
		.amdhsa_user_sgpr_count 15
		.amdhsa_user_sgpr_dispatch_ptr 1
		.amdhsa_user_sgpr_queue_ptr 0
		.amdhsa_user_sgpr_kernarg_segment_ptr 1
		.amdhsa_user_sgpr_dispatch_id 0
		.amdhsa_user_sgpr_private_segment_size 0
		.amdhsa_wavefront_size32 1
		.amdhsa_uses_dynamic_stack 0
		.amdhsa_enable_private_segment 0
		.amdhsa_system_sgpr_workgroup_id_x 1
		.amdhsa_system_sgpr_workgroup_id_y 0
		.amdhsa_system_sgpr_workgroup_id_z 0
		.amdhsa_system_sgpr_workgroup_info 0
		.amdhsa_system_vgpr_workitem_id 2
		.amdhsa_next_free_vgpr 45
		.amdhsa_next_free_sgpr 26
		.amdhsa_reserve_vcc 1
		.amdhsa_float_round_mode_32 0
		.amdhsa_float_round_mode_16_64 0
		.amdhsa_float_denorm_mode_32 3
		.amdhsa_float_denorm_mode_16_64 3
		.amdhsa_dx10_clamp 1
		.amdhsa_ieee_mode 1
		.amdhsa_fp16_overflow 0
		.amdhsa_workgroup_processor_mode 1
		.amdhsa_memory_ordered 1
		.amdhsa_forward_progress 0
		.amdhsa_shared_vgpr_count 0
		.amdhsa_exception_fp_ieee_invalid_op 0
		.amdhsa_exception_fp_denorm_src 0
		.amdhsa_exception_fp_ieee_div_zero 0
		.amdhsa_exception_fp_ieee_overflow 0
		.amdhsa_exception_fp_ieee_underflow 0
		.amdhsa_exception_fp_ieee_inexact 0
		.amdhsa_exception_int_div_zero 0
	.end_amdhsa_kernel
	.section	.text._ZN9rocsparseL29csrgeam_fill_multipass_kernelILj256ELj64Eii21rocsparse_complex_numIdEEEvllNS_24const_host_device_scalarIT3_EEPKT1_PKT2_PKS4_S5_S8_SB_SD_S8_PS9_PS4_21rocsparse_index_base_SG_SG_bbb,"axG",@progbits,_ZN9rocsparseL29csrgeam_fill_multipass_kernelILj256ELj64Eii21rocsparse_complex_numIdEEEvllNS_24const_host_device_scalarIT3_EEPKT1_PKT2_PKS4_S5_S8_SB_SD_S8_PS9_PS4_21rocsparse_index_base_SG_SG_bbb,comdat
.Lfunc_end19:
	.size	_ZN9rocsparseL29csrgeam_fill_multipass_kernelILj256ELj64Eii21rocsparse_complex_numIdEEEvllNS_24const_host_device_scalarIT3_EEPKT1_PKT2_PKS4_S5_S8_SB_SD_S8_PS9_PS4_21rocsparse_index_base_SG_SG_bbb, .Lfunc_end19-_ZN9rocsparseL29csrgeam_fill_multipass_kernelILj256ELj64Eii21rocsparse_complex_numIdEEEvllNS_24const_host_device_scalarIT3_EEPKT1_PKT2_PKS4_S5_S8_SB_SD_S8_PS9_PS4_21rocsparse_index_base_SG_SG_bbb
                                        ; -- End function
	.section	.AMDGPU.csdata,"",@progbits
; Kernel info:
; codeLenInByte = 2000
; NumSgprs: 28
; NumVgprs: 45
; ScratchSize: 0
; MemoryBound: 0
; FloatMode: 240
; IeeeMode: 1
; LDSByteSize: 8448 bytes/workgroup (compile time only)
; SGPRBlocks: 3
; VGPRBlocks: 5
; NumSGPRsForWavesPerEU: 28
; NumVGPRsForWavesPerEU: 45
; Occupancy: 16
; WaveLimiterHint : 1
; COMPUTE_PGM_RSRC2:SCRATCH_EN: 0
; COMPUTE_PGM_RSRC2:USER_SGPR: 15
; COMPUTE_PGM_RSRC2:TRAP_HANDLER: 0
; COMPUTE_PGM_RSRC2:TGID_X_EN: 1
; COMPUTE_PGM_RSRC2:TGID_Y_EN: 0
; COMPUTE_PGM_RSRC2:TGID_Z_EN: 0
; COMPUTE_PGM_RSRC2:TIDIG_COMP_CNT: 2
	.section	.text._ZN9rocsparseL29csrgeam_fill_multipass_kernelILj256ELj32Eli21rocsparse_complex_numIdEEEvllNS_24const_host_device_scalarIT3_EEPKT1_PKT2_PKS4_S5_S8_SB_SD_S8_PS9_PS4_21rocsparse_index_base_SG_SG_bbb,"axG",@progbits,_ZN9rocsparseL29csrgeam_fill_multipass_kernelILj256ELj32Eli21rocsparse_complex_numIdEEEvllNS_24const_host_device_scalarIT3_EEPKT1_PKT2_PKS4_S5_S8_SB_SD_S8_PS9_PS4_21rocsparse_index_base_SG_SG_bbb,comdat
	.globl	_ZN9rocsparseL29csrgeam_fill_multipass_kernelILj256ELj32Eli21rocsparse_complex_numIdEEEvllNS_24const_host_device_scalarIT3_EEPKT1_PKT2_PKS4_S5_S8_SB_SD_S8_PS9_PS4_21rocsparse_index_base_SG_SG_bbb ; -- Begin function _ZN9rocsparseL29csrgeam_fill_multipass_kernelILj256ELj32Eli21rocsparse_complex_numIdEEEvllNS_24const_host_device_scalarIT3_EEPKT1_PKT2_PKS4_S5_S8_SB_SD_S8_PS9_PS4_21rocsparse_index_base_SG_SG_bbb
	.p2align	8
	.type	_ZN9rocsparseL29csrgeam_fill_multipass_kernelILj256ELj32Eli21rocsparse_complex_numIdEEEvllNS_24const_host_device_scalarIT3_EEPKT1_PKT2_PKS4_S5_S8_SB_SD_S8_PS9_PS4_21rocsparse_index_base_SG_SG_bbb,@function
_ZN9rocsparseL29csrgeam_fill_multipass_kernelILj256ELj32Eli21rocsparse_complex_numIdEEEvllNS_24const_host_device_scalarIT3_EEPKT1_PKT2_PKS4_S5_S8_SB_SD_S8_PS9_PS4_21rocsparse_index_base_SG_SG_bbb: ; @_ZN9rocsparseL29csrgeam_fill_multipass_kernelILj256ELj32Eli21rocsparse_complex_numIdEEEvllNS_24const_host_device_scalarIT3_EEPKT1_PKT2_PKS4_S5_S8_SB_SD_S8_PS9_PS4_21rocsparse_index_base_SG_SG_bbb
; %bb.0:
	s_load_b32 s12, s[2:3], 0x84
	s_load_b64 s[24:25], s[0:1], 0x4
	s_load_b256 s[4:11], s[2:3], 0x0
	v_and_b32_e32 v20, 0x3ff, v0
	s_clause 0x1
	s_load_b128 s[20:23], s[2:3], 0x38
	s_load_b128 s[16:19], s[2:3], 0x78
	v_mov_b32_e32 v8, 0
	v_mov_b32_e32 v9, 0
	v_bfe_u32 v2, v0, 10, 10
	v_bfe_u32 v0, v0, 20, 10
	s_delay_alu instid0(VALU_DEP_3)
	v_dual_mov_b32 v11, v9 :: v_dual_mov_b32 v10, v8
	v_dual_mov_b32 v13, v9 :: v_dual_mov_b32 v12, v8
	s_waitcnt lgkmcnt(0)
	s_bitcmp1_b32 s12, 16
	s_cselect_b32 s0, -1, 0
	s_lshr_b32 s1, s24, 16
	v_mov_b32_e32 v3, s20
	s_mul_i32 s1, s1, s25
	s_delay_alu instid0(SALU_CYCLE_1) | instskip(SKIP_3) | instid1(VALU_DEP_2)
	v_mul_lo_u32 v1, s1, v20
	s_xor_b32 s1, s0, -1
	s_bitcmp0_b32 s19, 0
	v_cndmask_b32_e64 v5, 0, 1, s1
	v_mad_u32_u24 v1, v2, s25, v1
	s_delay_alu instid0(VALU_DEP_2) | instskip(NEXT) | instid1(VALU_DEP_2)
	v_cmp_ne_u32_e32 vcc_lo, 1, v5
	v_add_lshl_u32 v0, v1, v0, 3
	v_dual_mov_b32 v1, s8 :: v_dual_mov_b32 v2, s9
	s_delay_alu instid0(VALU_DEP_2)
	v_dual_mov_b32 v4, s21 :: v_dual_add_nc_u32 v5, 0x100, v0
	ds_store_2addr_stride64_b64 v5, v[3:4], v[1:2] offset0:8 offset1:12
	s_cbranch_scc1 .LBB20_3
; %bb.1:
	s_mov_b64 s[24:25], src_shared_base
	s_and_b32 s13, s0, exec_lo
	s_cselect_b32 s13, s25, s9
	s_delay_alu instid0(SALU_CYCLE_1) | instskip(SKIP_2) | instid1(VALU_DEP_2)
	v_dual_mov_b32 v2, s13 :: v_dual_add_nc_u32 v1, 0x1900, v0
	v_dual_mov_b32 v13, s11 :: v_dual_mov_b32 v12, s10
	s_and_b32 vcc_lo, exec_lo, vcc_lo
	v_cndmask_b32_e64 v1, s8, v1, s0
	flat_load_b64 v[10:11], v[1:2]
	s_cbranch_vccnz .LBB20_3
; %bb.2:
	v_dual_mov_b32 v1, s8 :: v_dual_mov_b32 v2, s9
	flat_load_b64 v[12:13], v[1:2] offset:8
.LBB20_3:
	v_dual_mov_b32 v15, v9 :: v_dual_mov_b32 v14, v8
	s_bfe_u32 s8, s12, 0x10008
	s_delay_alu instid0(SALU_CYCLE_1)
	s_cmp_eq_u32 s8, 0
	s_cbranch_scc1 .LBB20_6
; %bb.4:
	s_mov_b64 s[8:9], src_shared_base
	s_and_b32 s8, s0, exec_lo
	s_cselect_b32 s8, s9, s21
	s_delay_alu instid0(SALU_CYCLE_1) | instskip(SKIP_2) | instid1(VALU_DEP_2)
	v_dual_mov_b32 v1, s8 :: v_dual_add_nc_u32 v0, 0x1100, v0
	v_dual_mov_b32 v8, s22 :: v_dual_mov_b32 v9, s23
	s_and_not1_b32 vcc_lo, exec_lo, s1
	v_cndmask_b32_e64 v0, s20, v0, s0
	flat_load_b64 v[14:15], v[0:1]
	s_cbranch_vccnz .LBB20_6
; %bb.5:
	v_dual_mov_b32 v0, s20 :: v_dual_mov_b32 v1, s21
	flat_load_b64 v[8:9], v[0:1] offset:8
.LBB20_6:
	v_lshrrev_b32_e32 v0, 5, v20
	s_lshl_b32 s0, s15, 3
	v_mov_b32_e32 v1, 0
	s_delay_alu instid0(VALU_DEP_2) | instskip(SKIP_1) | instid1(VALU_DEP_1)
	v_and_or_b32 v0, 0x7fffff8, s0, v0
	s_mov_b32 s0, exec_lo
	v_cmpx_gt_i64_e64 s[4:5], v[0:1]
	s_cbranch_execz .LBB20_35
; %bb.7:
	s_clause 0x2
	s_load_b128 s[8:11], s[2:3], 0x20
	s_load_b64 s[0:1], s[2:3], 0x48
	s_load_b64 s[4:5], s[2:3], 0x60
	v_lshlrev_b32_e32 v16, 3, v0
	s_waitcnt lgkmcnt(0)
	s_clause 0x2
	global_load_b128 v[0:3], v16, s[8:9]
	global_load_b128 v[4:7], v16, s[0:1]
	global_load_b64 v[18:19], v16, s[4:5]
	s_waitcnt vmcnt(2)
	v_sub_co_u32 v16, s0, v0, s16
	s_delay_alu instid0(VALU_DEP_1) | instskip(SKIP_3) | instid1(SALU_CYCLE_1)
	v_subrev_co_ci_u32_e64 v17, s0, 0, v1, s0
	s_mov_b32 s0, exec_lo
	v_cmpx_ge_i64_e64 v[0:1], v[2:3]
	s_xor_b32 s0, exec_lo, s0
	s_or_saveexec_b32 s0, s0
	v_mov_b32_e32 v0, s6
	s_xor_b32 exec_lo, exec_lo, s0
	s_cbranch_execz .LBB20_9
; %bb.8:
	v_lshlrev_b64 v[0:1], 2, v[16:17]
	s_delay_alu instid0(VALU_DEP_1) | instskip(NEXT) | instid1(VALU_DEP_2)
	v_add_co_u32 v0, vcc_lo, s10, v0
	v_add_co_ci_u32_e32 v1, vcc_lo, s11, v1, vcc_lo
	global_load_b32 v0, v[0:1], off
	s_waitcnt vmcnt(0)
	v_subrev_nc_u32_e32 v0, s16, v0
.LBB20_9:
	s_or_b32 exec_lo, exec_lo, s0
	s_clause 0x2
	s_load_b128 s[20:23], s[2:3], 0x68
	s_load_b128 s[12:15], s[2:3], 0x50
	s_load_b64 s[2:3], s[2:3], 0x30
	s_waitcnt vmcnt(1)
	v_sub_co_u32 v21, s0, v4, s17
	s_delay_alu instid0(VALU_DEP_1) | instskip(SKIP_4) | instid1(SALU_CYCLE_1)
	v_subrev_co_ci_u32_e64 v22, s0, 0, v5, s0
	s_mov_b32 s0, s17
	s_mov_b32 s1, exec_lo
	v_cmpx_ge_i64_e64 v[4:5], v[6:7]
	s_xor_b32 s1, exec_lo, s1
	s_or_saveexec_b32 s1, s1
	v_mov_b32_e32 v25, s6
	v_mov_b32_e32 v1, s6
	s_xor_b32 exec_lo, exec_lo, s1
	s_cbranch_execz .LBB20_11
; %bb.10:
	v_lshlrev_b64 v[4:5], 2, v[21:22]
	v_mov_b32_e32 v25, s6
	s_waitcnt lgkmcnt(0)
	s_delay_alu instid0(VALU_DEP_2) | instskip(NEXT) | instid1(VALU_DEP_3)
	v_add_co_u32 v4, vcc_lo, s12, v4
	v_add_co_ci_u32_e32 v5, vcc_lo, s13, v5, vcc_lo
	global_load_b32 v1, v[4:5], off
	s_waitcnt vmcnt(0)
	v_subrev_nc_u32_e32 v1, s17, v1
.LBB20_11:
	s_or_b32 exec_lo, exec_lo, s1
	v_and_b32_e32 v4, 0xe0, v20
	s_waitcnt lgkmcnt(0)
	s_add_u32 s4, s20, -4
	s_addc_u32 s5, s21, -1
	s_add_u32 s8, s22, -16
	s_addc_u32 s9, s23, -1
	v_or_b32_e32 v26, 0x1000, v4
	v_lshlrev_b32_e32 v27, 4, v4
	v_sub_co_u32 v4, vcc_lo, v2, s16
	v_subrev_co_ci_u32_e32 v5, vcc_lo, 0, v3, vcc_lo
	v_sub_co_u32 v6, vcc_lo, v6, s0
	v_and_b32_e32 v2, 31, v20
	v_subrev_co_ci_u32_e32 v7, vcc_lo, 0, v7, vcc_lo
	s_waitcnt vmcnt(0)
	v_sub_co_u32 v28, vcc_lo, v18, s18
	v_min_i32_e32 v20, v1, v0
	v_mbcnt_lo_u32_b32 v1, -1, 0
	v_subrev_co_ci_u32_e32 v29, vcc_lo, 0, v19, vcc_lo
	v_add_co_u32 v16, vcc_lo, v16, v2
	v_add_co_ci_u32_e32 v17, vcc_lo, 0, v17, vcc_lo
	v_xor_b32_e32 v3, 31, v2
	v_add_co_u32 v18, vcc_lo, v21, v2
	v_xor_b32_e32 v21, 16, v1
	v_add_co_ci_u32_e32 v19, vcc_lo, 0, v22, vcc_lo
	s_delay_alu instid0(VALU_DEP_4) | instskip(SKIP_1) | instid1(VALU_DEP_4)
	v_lshrrev_b32_e64 v31, v3, -1
	v_xor_b32_e32 v3, 8, v1
	v_cmp_gt_i32_e32 vcc_lo, 32, v21
	v_xor_b32_e32 v22, 4, v1
	v_xor_b32_e32 v23, 2, v1
	;; [unrolled: 1-line block ×3, first 2 shown]
	v_dual_mov_b32 v0, 0 :: v_dual_cndmask_b32 v21, v1, v21
	v_cmp_gt_i32_e32 vcc_lo, 32, v3
	s_add_u32 s2, s2, 8
	v_mov_b32_e32 v39, 1
	s_addc_u32 s3, s3, 0
	v_lshlrev_b32_e32 v33, 2, v21
	v_cndmask_b32_e32 v3, v1, v3, vcc_lo
	v_cmp_gt_i32_e32 vcc_lo, 32, v22
	v_lshl_or_b32 v30, v2, 4, v27
	v_add_nc_u32_e32 v38, v26, v2
	s_add_u32 s14, s14, 8
	v_dual_mov_b32 v3, v0 :: v_dual_lshlrev_b32 v34, 2, v3
	v_cndmask_b32_e32 v22, v1, v22, vcc_lo
	v_cmp_gt_i32_e32 vcc_lo, 32, v23
	v_add_nc_u32_e32 v32, s18, v2
	v_mov_b32_e32 v2, v0
	s_mov_b32 s1, 0
	v_lshlrev_b32_e32 v35, 2, v22
	v_cndmask_b32_e32 v23, v1, v23, vcc_lo
	v_cmp_gt_i32_e32 vcc_lo, 32, v24
	s_addc_u32 s15, s15, 0
	s_delay_alu instid0(VALU_DEP_2) | instskip(NEXT) | instid1(VALU_DEP_1)
	v_dual_cndmask_b32 v1, v1, v24 :: v_dual_lshlrev_b32 v36, 2, v23
	v_lshlrev_b32_e32 v37, 2, v1
	v_mov_b32_e32 v1, v0
	s_branch .LBB20_13
.LBB20_12:                              ;   in Loop: Header=BB20_13 Depth=1
	s_or_b32 exec_lo, exec_lo, s18
	ds_bpermute_b32 v20, v33, v40
	s_bcnt1_i32_b32 s0, vcc_lo
	s_delay_alu instid0(SALU_CYCLE_1) | instskip(NEXT) | instid1(VALU_DEP_1)
	v_add_co_u32 v28, s0, v28, s0
	v_add_co_ci_u32_e64 v29, s0, 0, v29, s0
	s_waitcnt lgkmcnt(0)
	v_min_i32_e32 v20, v20, v40
	ds_bpermute_b32 v21, v34, v20
	s_waitcnt lgkmcnt(0)
	v_min_i32_e32 v20, v21, v20
	ds_bpermute_b32 v21, v35, v20
	;; [unrolled: 3-line block ×4, first 2 shown]
	s_waitcnt lgkmcnt(0)
	v_min_i32_e32 v20, v21, v20
	s_delay_alu instid0(VALU_DEP_1) | instskip(NEXT) | instid1(VALU_DEP_1)
	v_ashrrev_i32_e32 v21, 31, v20
	v_cmp_le_i64_e32 vcc_lo, s[6:7], v[20:21]
	s_or_b32 s1, vcc_lo, s1
	s_delay_alu instid0(SALU_CYCLE_1)
	s_and_not1_b32 exec_lo, exec_lo, s1
	s_cbranch_execz .LBB20_35
.LBB20_13:                              ; =>This Loop Header: Depth=1
                                        ;     Child Loop BB20_16 Depth 2
                                        ;     Child Loop BB20_26 Depth 2
	v_mov_b32_e32 v40, v25
	s_mov_b32 s18, exec_lo
	ds_store_b8 v38, v0
	ds_store_b128 v30, v[0:3]
	s_waitcnt lgkmcnt(0)
	buffer_gl0_inv
	v_cmpx_lt_i64_e64 v[16:17], v[4:5]
	s_cbranch_execz .LBB20_23
; %bb.14:                               ;   in Loop: Header=BB20_13 Depth=1
	v_lshlrev_b64 v[21:22], 2, v[16:17]
	v_lshlrev_b64 v[23:24], 4, v[16:17]
	v_mov_b32_e32 v40, v25
	s_mov_b32 s19, 0
	s_delay_alu instid0(VALU_DEP_3) | instskip(NEXT) | instid1(VALU_DEP_4)
	v_add_co_u32 v21, vcc_lo, s10, v21
	v_add_co_ci_u32_e32 v22, vcc_lo, s11, v22, vcc_lo
	s_delay_alu instid0(VALU_DEP_4)
	v_add_co_u32 v23, vcc_lo, s2, v23
	v_add_co_ci_u32_e32 v24, vcc_lo, s3, v24, vcc_lo
	s_branch .LBB20_16
.LBB20_15:                              ;   in Loop: Header=BB20_16 Depth=2
	s_or_b32 exec_lo, exec_lo, s20
	s_delay_alu instid0(SALU_CYCLE_1) | instskip(NEXT) | instid1(SALU_CYCLE_1)
	s_and_b32 s0, exec_lo, s0
	s_or_b32 s19, s0, s19
	s_delay_alu instid0(SALU_CYCLE_1)
	s_and_not1_b32 exec_lo, exec_lo, s19
	s_cbranch_execz .LBB20_22
.LBB20_16:                              ;   Parent Loop BB20_13 Depth=1
                                        ; =>  This Inner Loop Header: Depth=2
	global_load_b32 v41, v[21:22], off
	s_waitcnt vmcnt(0)
	v_subrev_nc_u32_e32 v42, s16, v41
	s_delay_alu instid0(VALU_DEP_1) | instskip(NEXT) | instid1(VALU_DEP_1)
	v_sub_nc_u32_e32 v41, v42, v20
	v_cmp_gt_u32_e32 vcc_lo, 32, v41
	v_cmp_lt_u32_e64 s0, 31, v41
	s_delay_alu instid0(VALU_DEP_1) | instskip(NEXT) | instid1(SALU_CYCLE_1)
	s_and_saveexec_b32 s20, s0
	s_xor_b32 s0, exec_lo, s20
	s_cbranch_execnz .LBB20_19
; %bb.17:                               ;   in Loop: Header=BB20_16 Depth=2
	s_and_not1_saveexec_b32 s0, s0
	s_cbranch_execnz .LBB20_20
.LBB20_18:                              ;   in Loop: Header=BB20_16 Depth=2
	s_or_b32 exec_lo, exec_lo, s0
	s_mov_b32 s0, -1
	s_and_saveexec_b32 s20, vcc_lo
	s_cbranch_execz .LBB20_15
	s_branch .LBB20_21
.LBB20_19:                              ;   in Loop: Header=BB20_16 Depth=2
	v_min_i32_e32 v40, v42, v40
                                        ; implicit-def: $vgpr41
	s_and_not1_saveexec_b32 s0, s0
	s_cbranch_execz .LBB20_18
.LBB20_20:                              ;   in Loop: Header=BB20_16 Depth=2
	global_load_b128 v[42:45], v[23:24], off offset:-8
	s_waitcnt vmcnt(0)
	v_mul_f64 v[46:47], v[44:45], -v[12:13]
	v_mul_f64 v[48:49], v[10:11], v[44:45]
	s_delay_alu instid0(VALU_DEP_2) | instskip(NEXT) | instid1(VALU_DEP_2)
	v_fma_f64 v[44:45], v[10:11], v[42:43], v[46:47]
	v_fma_f64 v[46:47], v[12:13], v[42:43], v[48:49]
	v_add_nc_u32_e32 v42, v26, v41
	v_lshl_add_u32 v41, v41, 4, v27
	ds_store_b8 v42, v39
	ds_store_b128 v41, v[44:47]
	s_or_b32 exec_lo, exec_lo, s0
	s_mov_b32 s0, -1
	s_and_saveexec_b32 s20, vcc_lo
	s_cbranch_execz .LBB20_15
.LBB20_21:                              ;   in Loop: Header=BB20_16 Depth=2
	v_add_co_u32 v16, vcc_lo, v16, 32
	v_add_co_ci_u32_e32 v17, vcc_lo, 0, v17, vcc_lo
	v_add_co_u32 v21, vcc_lo, 0x80, v21
	v_add_co_ci_u32_e32 v22, vcc_lo, 0, v22, vcc_lo
	s_delay_alu instid0(VALU_DEP_3) | instskip(SKIP_1) | instid1(VALU_DEP_1)
	v_cmp_ge_i64_e32 vcc_lo, v[16:17], v[4:5]
	v_add_co_u32 v23, s0, 0x200, v23
	v_add_co_ci_u32_e64 v24, s0, 0, v24, s0
	s_or_not1_b32 s0, vcc_lo, exec_lo
	s_branch .LBB20_15
.LBB20_22:                              ;   in Loop: Header=BB20_13 Depth=1
	s_or_b32 exec_lo, exec_lo, s19
.LBB20_23:                              ;   in Loop: Header=BB20_13 Depth=1
	s_delay_alu instid0(SALU_CYCLE_1) | instskip(NEXT) | instid1(SALU_CYCLE_1)
	s_or_b32 exec_lo, exec_lo, s18
	s_mov_b32 s18, exec_lo
	s_waitcnt lgkmcnt(0)
	buffer_gl0_inv
	v_cmpx_lt_i64_e64 v[18:19], v[6:7]
	s_cbranch_execz .LBB20_33
; %bb.24:                               ;   in Loop: Header=BB20_13 Depth=1
	v_lshlrev_b64 v[21:22], 2, v[18:19]
	v_lshlrev_b64 v[23:24], 4, v[18:19]
	s_mov_b32 s19, 0
	s_delay_alu instid0(VALU_DEP_2) | instskip(NEXT) | instid1(VALU_DEP_3)
	v_add_co_u32 v21, vcc_lo, s12, v21
	v_add_co_ci_u32_e32 v22, vcc_lo, s13, v22, vcc_lo
	s_delay_alu instid0(VALU_DEP_3) | instskip(NEXT) | instid1(VALU_DEP_4)
	v_add_co_u32 v23, vcc_lo, s14, v23
	v_add_co_ci_u32_e32 v24, vcc_lo, s15, v24, vcc_lo
	s_branch .LBB20_26
.LBB20_25:                              ;   in Loop: Header=BB20_26 Depth=2
	s_or_b32 exec_lo, exec_lo, s20
	s_delay_alu instid0(SALU_CYCLE_1) | instskip(NEXT) | instid1(SALU_CYCLE_1)
	s_and_b32 s0, exec_lo, s0
	s_or_b32 s19, s0, s19
	s_delay_alu instid0(SALU_CYCLE_1)
	s_and_not1_b32 exec_lo, exec_lo, s19
	s_cbranch_execz .LBB20_32
.LBB20_26:                              ;   Parent Loop BB20_13 Depth=1
                                        ; =>  This Inner Loop Header: Depth=2
	global_load_b32 v41, v[21:22], off
	s_waitcnt vmcnt(0)
	v_subrev_nc_u32_e32 v42, s17, v41
	s_delay_alu instid0(VALU_DEP_1) | instskip(NEXT) | instid1(VALU_DEP_1)
	v_sub_nc_u32_e32 v41, v42, v20
	v_cmp_gt_u32_e32 vcc_lo, 32, v41
	v_cmp_lt_u32_e64 s0, 31, v41
	s_delay_alu instid0(VALU_DEP_1) | instskip(NEXT) | instid1(SALU_CYCLE_1)
	s_and_saveexec_b32 s20, s0
	s_xor_b32 s0, exec_lo, s20
	s_cbranch_execnz .LBB20_29
; %bb.27:                               ;   in Loop: Header=BB20_26 Depth=2
	s_and_not1_saveexec_b32 s0, s0
	s_cbranch_execnz .LBB20_30
.LBB20_28:                              ;   in Loop: Header=BB20_26 Depth=2
	s_or_b32 exec_lo, exec_lo, s0
	s_mov_b32 s0, -1
	s_and_saveexec_b32 s20, vcc_lo
	s_cbranch_execz .LBB20_25
	s_branch .LBB20_31
.LBB20_29:                              ;   in Loop: Header=BB20_26 Depth=2
	v_min_i32_e32 v40, v42, v40
                                        ; implicit-def: $vgpr41
	s_and_not1_saveexec_b32 s0, s0
	s_cbranch_execz .LBB20_28
.LBB20_30:                              ;   in Loop: Header=BB20_26 Depth=2
	global_load_b128 v[42:45], v[23:24], off offset:-8
	v_lshl_add_u32 v50, v41, 4, v27
	v_add_nc_u32_e32 v41, v26, v41
	ds_load_b128 v[46:49], v50
	s_waitcnt vmcnt(0) lgkmcnt(0)
	v_fma_f64 v[46:47], v[14:15], v[42:43], v[46:47]
	v_fma_f64 v[48:49], v[8:9], v[42:43], v[48:49]
	s_delay_alu instid0(VALU_DEP_2) | instskip(NEXT) | instid1(VALU_DEP_2)
	v_fma_f64 v[42:43], -v[8:9], v[44:45], v[46:47]
	v_fma_f64 v[44:45], v[14:15], v[44:45], v[48:49]
	ds_store_b8 v41, v39
	ds_store_b128 v50, v[42:45]
	s_or_b32 exec_lo, exec_lo, s0
	s_mov_b32 s0, -1
	s_and_saveexec_b32 s20, vcc_lo
	s_cbranch_execz .LBB20_25
.LBB20_31:                              ;   in Loop: Header=BB20_26 Depth=2
	v_add_co_u32 v18, vcc_lo, v18, 32
	v_add_co_ci_u32_e32 v19, vcc_lo, 0, v19, vcc_lo
	v_add_co_u32 v21, vcc_lo, 0x80, v21
	v_add_co_ci_u32_e32 v22, vcc_lo, 0, v22, vcc_lo
	s_delay_alu instid0(VALU_DEP_3) | instskip(SKIP_1) | instid1(VALU_DEP_1)
	v_cmp_ge_i64_e32 vcc_lo, v[18:19], v[6:7]
	v_add_co_u32 v23, s0, 0x200, v23
	v_add_co_ci_u32_e64 v24, s0, 0, v24, s0
	s_or_not1_b32 s0, vcc_lo, exec_lo
	s_branch .LBB20_25
.LBB20_32:                              ;   in Loop: Header=BB20_13 Depth=1
	s_or_b32 exec_lo, exec_lo, s19
.LBB20_33:                              ;   in Loop: Header=BB20_13 Depth=1
	s_delay_alu instid0(SALU_CYCLE_1)
	s_or_b32 exec_lo, exec_lo, s18
	s_waitcnt lgkmcnt(0)
	buffer_gl0_inv
	ds_load_u8 v21, v38
	s_mov_b32 s18, exec_lo
	s_waitcnt lgkmcnt(0)
	v_and_b32_e32 v22, 1, v21
	v_cmp_ne_u16_e32 vcc_lo, 0, v21
	s_delay_alu instid0(VALU_DEP_2)
	v_cmpx_eq_u32_e32 1, v22
	s_cbranch_execz .LBB20_12
; %bb.34:                               ;   in Loop: Header=BB20_13 Depth=1
	v_and_b32_e32 v21, vcc_lo, v31
	v_add_nc_u32_e32 v20, v32, v20
	s_delay_alu instid0(VALU_DEP_2) | instskip(NEXT) | instid1(VALU_DEP_1)
	v_bcnt_u32_b32 v21, v21, 0
	v_add_co_u32 v41, s0, v28, v21
	s_delay_alu instid0(VALU_DEP_1) | instskip(SKIP_3) | instid1(VALU_DEP_2)
	v_add_co_ci_u32_e64 v42, s0, 0, v29, s0
	ds_load_2addr_b64 v[21:24], v30 offset1:1
	v_lshlrev_b64 v[43:44], 2, v[41:42]
	v_lshlrev_b64 v[41:42], 4, v[41:42]
	v_add_co_u32 v43, s0, s4, v43
	s_delay_alu instid0(VALU_DEP_1) | instskip(NEXT) | instid1(VALU_DEP_3)
	v_add_co_ci_u32_e64 v44, s0, s5, v44, s0
	v_add_co_u32 v41, s0, s8, v41
	s_delay_alu instid0(VALU_DEP_1)
	v_add_co_ci_u32_e64 v42, s0, s9, v42, s0
	global_store_b32 v[43:44], v20, off
	s_waitcnt lgkmcnt(0)
	global_store_b128 v[41:42], v[21:24], off
	s_branch .LBB20_12
.LBB20_35:
	s_nop 0
	s_sendmsg sendmsg(MSG_DEALLOC_VGPRS)
	s_endpgm
	.section	.rodata,"a",@progbits
	.p2align	6, 0x0
	.amdhsa_kernel _ZN9rocsparseL29csrgeam_fill_multipass_kernelILj256ELj32Eli21rocsparse_complex_numIdEEEvllNS_24const_host_device_scalarIT3_EEPKT1_PKT2_PKS4_S5_S8_SB_SD_S8_PS9_PS4_21rocsparse_index_base_SG_SG_bbb
		.amdhsa_group_segment_fixed_size 8448
		.amdhsa_private_segment_fixed_size 0
		.amdhsa_kernarg_size 136
		.amdhsa_user_sgpr_count 15
		.amdhsa_user_sgpr_dispatch_ptr 1
		.amdhsa_user_sgpr_queue_ptr 0
		.amdhsa_user_sgpr_kernarg_segment_ptr 1
		.amdhsa_user_sgpr_dispatch_id 0
		.amdhsa_user_sgpr_private_segment_size 0
		.amdhsa_wavefront_size32 1
		.amdhsa_uses_dynamic_stack 0
		.amdhsa_enable_private_segment 0
		.amdhsa_system_sgpr_workgroup_id_x 1
		.amdhsa_system_sgpr_workgroup_id_y 0
		.amdhsa_system_sgpr_workgroup_id_z 0
		.amdhsa_system_sgpr_workgroup_info 0
		.amdhsa_system_vgpr_workitem_id 2
		.amdhsa_next_free_vgpr 51
		.amdhsa_next_free_sgpr 26
		.amdhsa_reserve_vcc 1
		.amdhsa_float_round_mode_32 0
		.amdhsa_float_round_mode_16_64 0
		.amdhsa_float_denorm_mode_32 3
		.amdhsa_float_denorm_mode_16_64 3
		.amdhsa_dx10_clamp 1
		.amdhsa_ieee_mode 1
		.amdhsa_fp16_overflow 0
		.amdhsa_workgroup_processor_mode 1
		.amdhsa_memory_ordered 1
		.amdhsa_forward_progress 0
		.amdhsa_shared_vgpr_count 0
		.amdhsa_exception_fp_ieee_invalid_op 0
		.amdhsa_exception_fp_denorm_src 0
		.amdhsa_exception_fp_ieee_div_zero 0
		.amdhsa_exception_fp_ieee_overflow 0
		.amdhsa_exception_fp_ieee_underflow 0
		.amdhsa_exception_fp_ieee_inexact 0
		.amdhsa_exception_int_div_zero 0
	.end_amdhsa_kernel
	.section	.text._ZN9rocsparseL29csrgeam_fill_multipass_kernelILj256ELj32Eli21rocsparse_complex_numIdEEEvllNS_24const_host_device_scalarIT3_EEPKT1_PKT2_PKS4_S5_S8_SB_SD_S8_PS9_PS4_21rocsparse_index_base_SG_SG_bbb,"axG",@progbits,_ZN9rocsparseL29csrgeam_fill_multipass_kernelILj256ELj32Eli21rocsparse_complex_numIdEEEvllNS_24const_host_device_scalarIT3_EEPKT1_PKT2_PKS4_S5_S8_SB_SD_S8_PS9_PS4_21rocsparse_index_base_SG_SG_bbb,comdat
.Lfunc_end20:
	.size	_ZN9rocsparseL29csrgeam_fill_multipass_kernelILj256ELj32Eli21rocsparse_complex_numIdEEEvllNS_24const_host_device_scalarIT3_EEPKT1_PKT2_PKS4_S5_S8_SB_SD_S8_PS9_PS4_21rocsparse_index_base_SG_SG_bbb, .Lfunc_end20-_ZN9rocsparseL29csrgeam_fill_multipass_kernelILj256ELj32Eli21rocsparse_complex_numIdEEEvllNS_24const_host_device_scalarIT3_EEPKT1_PKT2_PKS4_S5_S8_SB_SD_S8_PS9_PS4_21rocsparse_index_base_SG_SG_bbb
                                        ; -- End function
	.section	.AMDGPU.csdata,"",@progbits
; Kernel info:
; codeLenInByte = 2120
; NumSgprs: 28
; NumVgprs: 51
; ScratchSize: 0
; MemoryBound: 0
; FloatMode: 240
; IeeeMode: 1
; LDSByteSize: 8448 bytes/workgroup (compile time only)
; SGPRBlocks: 3
; VGPRBlocks: 6
; NumSGPRsForWavesPerEU: 28
; NumVGPRsForWavesPerEU: 51
; Occupancy: 16
; WaveLimiterHint : 1
; COMPUTE_PGM_RSRC2:SCRATCH_EN: 0
; COMPUTE_PGM_RSRC2:USER_SGPR: 15
; COMPUTE_PGM_RSRC2:TRAP_HANDLER: 0
; COMPUTE_PGM_RSRC2:TGID_X_EN: 1
; COMPUTE_PGM_RSRC2:TGID_Y_EN: 0
; COMPUTE_PGM_RSRC2:TGID_Z_EN: 0
; COMPUTE_PGM_RSRC2:TIDIG_COMP_CNT: 2
	.section	.text._ZN9rocsparseL29csrgeam_fill_multipass_kernelILj256ELj64Eli21rocsparse_complex_numIdEEEvllNS_24const_host_device_scalarIT3_EEPKT1_PKT2_PKS4_S5_S8_SB_SD_S8_PS9_PS4_21rocsparse_index_base_SG_SG_bbb,"axG",@progbits,_ZN9rocsparseL29csrgeam_fill_multipass_kernelILj256ELj64Eli21rocsparse_complex_numIdEEEvllNS_24const_host_device_scalarIT3_EEPKT1_PKT2_PKS4_S5_S8_SB_SD_S8_PS9_PS4_21rocsparse_index_base_SG_SG_bbb,comdat
	.globl	_ZN9rocsparseL29csrgeam_fill_multipass_kernelILj256ELj64Eli21rocsparse_complex_numIdEEEvllNS_24const_host_device_scalarIT3_EEPKT1_PKT2_PKS4_S5_S8_SB_SD_S8_PS9_PS4_21rocsparse_index_base_SG_SG_bbb ; -- Begin function _ZN9rocsparseL29csrgeam_fill_multipass_kernelILj256ELj64Eli21rocsparse_complex_numIdEEEvllNS_24const_host_device_scalarIT3_EEPKT1_PKT2_PKS4_S5_S8_SB_SD_S8_PS9_PS4_21rocsparse_index_base_SG_SG_bbb
	.p2align	8
	.type	_ZN9rocsparseL29csrgeam_fill_multipass_kernelILj256ELj64Eli21rocsparse_complex_numIdEEEvllNS_24const_host_device_scalarIT3_EEPKT1_PKT2_PKS4_S5_S8_SB_SD_S8_PS9_PS4_21rocsparse_index_base_SG_SG_bbb,@function
_ZN9rocsparseL29csrgeam_fill_multipass_kernelILj256ELj64Eli21rocsparse_complex_numIdEEEvllNS_24const_host_device_scalarIT3_EEPKT1_PKT2_PKS4_S5_S8_SB_SD_S8_PS9_PS4_21rocsparse_index_base_SG_SG_bbb: ; @_ZN9rocsparseL29csrgeam_fill_multipass_kernelILj256ELj64Eli21rocsparse_complex_numIdEEEvllNS_24const_host_device_scalarIT3_EEPKT1_PKT2_PKS4_S5_S8_SB_SD_S8_PS9_PS4_21rocsparse_index_base_SG_SG_bbb
; %bb.0:
	s_load_b32 s12, s[2:3], 0x84
	s_load_b64 s[24:25], s[0:1], 0x4
	s_load_b256 s[4:11], s[2:3], 0x0
	v_and_b32_e32 v20, 0x3ff, v0
	s_clause 0x1
	s_load_b128 s[20:23], s[2:3], 0x38
	s_load_b128 s[16:19], s[2:3], 0x78
	v_mov_b32_e32 v8, 0
	v_mov_b32_e32 v9, 0
	v_bfe_u32 v2, v0, 10, 10
	v_bfe_u32 v0, v0, 20, 10
	s_delay_alu instid0(VALU_DEP_3)
	v_dual_mov_b32 v11, v9 :: v_dual_mov_b32 v10, v8
	v_dual_mov_b32 v13, v9 :: v_dual_mov_b32 v12, v8
	s_waitcnt lgkmcnt(0)
	s_bitcmp1_b32 s12, 16
	s_cselect_b32 s0, -1, 0
	s_lshr_b32 s1, s24, 16
	v_mov_b32_e32 v3, s20
	s_mul_i32 s1, s1, s25
	s_delay_alu instid0(SALU_CYCLE_1) | instskip(SKIP_3) | instid1(VALU_DEP_2)
	v_mul_lo_u32 v1, s1, v20
	s_xor_b32 s1, s0, -1
	s_bitcmp0_b32 s19, 0
	v_cndmask_b32_e64 v5, 0, 1, s1
	v_mad_u32_u24 v1, v2, s25, v1
	s_delay_alu instid0(VALU_DEP_2) | instskip(NEXT) | instid1(VALU_DEP_2)
	v_cmp_ne_u32_e32 vcc_lo, 1, v5
	v_add_lshl_u32 v0, v1, v0, 3
	v_dual_mov_b32 v1, s8 :: v_dual_mov_b32 v2, s9
	s_delay_alu instid0(VALU_DEP_2)
	v_dual_mov_b32 v4, s21 :: v_dual_add_nc_u32 v5, 0x100, v0
	ds_store_2addr_stride64_b64 v5, v[3:4], v[1:2] offset0:8 offset1:12
	s_cbranch_scc1 .LBB21_3
; %bb.1:
	s_mov_b64 s[24:25], src_shared_base
	s_and_b32 s13, s0, exec_lo
	s_cselect_b32 s13, s25, s9
	s_delay_alu instid0(SALU_CYCLE_1) | instskip(SKIP_2) | instid1(VALU_DEP_2)
	v_dual_mov_b32 v2, s13 :: v_dual_add_nc_u32 v1, 0x1900, v0
	v_dual_mov_b32 v13, s11 :: v_dual_mov_b32 v12, s10
	s_and_b32 vcc_lo, exec_lo, vcc_lo
	v_cndmask_b32_e64 v1, s8, v1, s0
	flat_load_b64 v[10:11], v[1:2]
	s_cbranch_vccnz .LBB21_3
; %bb.2:
	v_dual_mov_b32 v1, s8 :: v_dual_mov_b32 v2, s9
	flat_load_b64 v[12:13], v[1:2] offset:8
.LBB21_3:
	v_dual_mov_b32 v15, v9 :: v_dual_mov_b32 v14, v8
	s_bfe_u32 s8, s12, 0x10008
	s_delay_alu instid0(SALU_CYCLE_1)
	s_cmp_eq_u32 s8, 0
	s_cbranch_scc1 .LBB21_6
; %bb.4:
	s_mov_b64 s[8:9], src_shared_base
	s_and_b32 s8, s0, exec_lo
	s_cselect_b32 s8, s9, s21
	s_delay_alu instid0(SALU_CYCLE_1) | instskip(SKIP_2) | instid1(VALU_DEP_2)
	v_dual_mov_b32 v1, s8 :: v_dual_add_nc_u32 v0, 0x1100, v0
	v_dual_mov_b32 v8, s22 :: v_dual_mov_b32 v9, s23
	s_and_not1_b32 vcc_lo, exec_lo, s1
	v_cndmask_b32_e64 v0, s20, v0, s0
	flat_load_b64 v[14:15], v[0:1]
	s_cbranch_vccnz .LBB21_6
; %bb.5:
	v_dual_mov_b32 v0, s20 :: v_dual_mov_b32 v1, s21
	flat_load_b64 v[8:9], v[0:1] offset:8
.LBB21_6:
	v_lshrrev_b32_e32 v0, 6, v20
	s_lshl_b32 s0, s15, 2
	v_mov_b32_e32 v1, 0
	s_delay_alu instid0(VALU_DEP_2) | instskip(SKIP_1) | instid1(VALU_DEP_1)
	v_and_or_b32 v0, 0x3fffffc, s0, v0
	s_mov_b32 s0, exec_lo
	v_cmpx_gt_i64_e64 s[4:5], v[0:1]
	s_cbranch_execz .LBB21_35
; %bb.7:
	s_clause 0x2
	s_load_b128 s[8:11], s[2:3], 0x20
	s_load_b64 s[0:1], s[2:3], 0x48
	s_load_b64 s[4:5], s[2:3], 0x60
	v_lshlrev_b32_e32 v16, 3, v0
	s_waitcnt lgkmcnt(0)
	s_clause 0x2
	global_load_b128 v[0:3], v16, s[8:9]
	global_load_b128 v[4:7], v16, s[0:1]
	global_load_b64 v[18:19], v16, s[4:5]
	s_waitcnt vmcnt(2)
	v_sub_co_u32 v16, s0, v0, s16
	s_delay_alu instid0(VALU_DEP_1) | instskip(SKIP_3) | instid1(SALU_CYCLE_1)
	v_subrev_co_ci_u32_e64 v17, s0, 0, v1, s0
	s_mov_b32 s0, exec_lo
	v_cmpx_ge_i64_e64 v[0:1], v[2:3]
	s_xor_b32 s0, exec_lo, s0
	s_or_saveexec_b32 s0, s0
	v_mov_b32_e32 v0, s6
	s_xor_b32 exec_lo, exec_lo, s0
	s_cbranch_execz .LBB21_9
; %bb.8:
	v_lshlrev_b64 v[0:1], 2, v[16:17]
	s_delay_alu instid0(VALU_DEP_1) | instskip(NEXT) | instid1(VALU_DEP_2)
	v_add_co_u32 v0, vcc_lo, s10, v0
	v_add_co_ci_u32_e32 v1, vcc_lo, s11, v1, vcc_lo
	global_load_b32 v0, v[0:1], off
	s_waitcnt vmcnt(0)
	v_subrev_nc_u32_e32 v0, s16, v0
.LBB21_9:
	s_or_b32 exec_lo, exec_lo, s0
	s_clause 0x2
	s_load_b128 s[20:23], s[2:3], 0x68
	s_load_b128 s[12:15], s[2:3], 0x50
	s_load_b64 s[2:3], s[2:3], 0x30
	s_waitcnt vmcnt(1)
	v_sub_co_u32 v21, s0, v4, s17
	s_delay_alu instid0(VALU_DEP_1) | instskip(SKIP_4) | instid1(SALU_CYCLE_1)
	v_subrev_co_ci_u32_e64 v22, s0, 0, v5, s0
	s_mov_b32 s0, s17
	s_mov_b32 s1, exec_lo
	v_cmpx_ge_i64_e64 v[4:5], v[6:7]
	s_xor_b32 s1, exec_lo, s1
	s_or_saveexec_b32 s1, s1
	v_mov_b32_e32 v27, s6
	v_mov_b32_e32 v1, s6
	s_xor_b32 exec_lo, exec_lo, s1
	s_cbranch_execz .LBB21_11
; %bb.10:
	v_lshlrev_b64 v[4:5], 2, v[21:22]
	v_mov_b32_e32 v27, s6
	s_waitcnt lgkmcnt(0)
	s_delay_alu instid0(VALU_DEP_2) | instskip(NEXT) | instid1(VALU_DEP_3)
	v_add_co_u32 v4, vcc_lo, s12, v4
	v_add_co_ci_u32_e32 v5, vcc_lo, s13, v5, vcc_lo
	global_load_b32 v1, v[4:5], off
	s_waitcnt vmcnt(0)
	v_subrev_nc_u32_e32 v1, s17, v1
.LBB21_11:
	s_or_b32 exec_lo, exec_lo, s1
	v_and_b32_e32 v4, 0xc0, v20
	s_waitcnt lgkmcnt(0)
	s_add_u32 s4, s20, -4
	s_addc_u32 s5, s21, -1
	s_add_u32 s8, s22, -16
	s_addc_u32 s9, s23, -1
	v_or_b32_e32 v28, 0x1000, v4
	v_lshlrev_b32_e32 v29, 4, v4
	v_sub_co_u32 v4, vcc_lo, v2, s16
	v_subrev_co_ci_u32_e32 v5, vcc_lo, 0, v3, vcc_lo
	v_sub_co_u32 v6, vcc_lo, v6, s0
	v_and_b32_e32 v2, 63, v20
	v_subrev_co_ci_u32_e32 v7, vcc_lo, 0, v7, vcc_lo
	v_min_i32_e32 v20, v1, v0
	v_mbcnt_lo_u32_b32 v1, -1, 0
	s_waitcnt vmcnt(0)
	v_sub_co_u32 v30, vcc_lo, v18, s18
	v_subrev_co_ci_u32_e32 v31, vcc_lo, 0, v19, vcc_lo
	v_add_co_u32 v16, vcc_lo, v16, v2
	v_or_b32_e32 v3, 32, v1
	v_add_co_ci_u32_e32 v17, vcc_lo, 0, v17, vcc_lo
	v_add_co_u32 v18, vcc_lo, v21, v2
	v_add_co_ci_u32_e32 v19, vcc_lo, 0, v22, vcc_lo
	s_delay_alu instid0(VALU_DEP_4) | instskip(SKIP_4) | instid1(VALU_DEP_4)
	v_cmp_gt_i32_e32 vcc_lo, 32, v3
	v_xor_b32_e32 v24, 16, v1
	v_xor_b32_e32 v21, 63, v2
	;; [unrolled: 1-line block ×3, first 2 shown]
	v_dual_mov_b32 v0, 0 :: v_dual_cndmask_b32 v3, v1, v3
	v_cmp_gt_i32_e32 vcc_lo, 32, v24
	s_delay_alu instid0(VALU_DEP_4)
	v_lshrrev_b64 v[22:23], v21, -1
	v_xor_b32_e32 v23, 4, v1
	s_add_u32 s2, s2, 8
	v_dual_cndmask_b32 v21, v1, v24 :: v_dual_lshlrev_b32 v34, 2, v3
	v_xor_b32_e32 v3, 8, v1
	v_xor_b32_e32 v24, 2, v1
	v_mov_b32_e32 v41, 1
	s_addc_u32 s3, s3, 0
	v_lshlrev_b32_e32 v35, 2, v21
	v_cmp_gt_i32_e32 vcc_lo, 32, v3
	s_add_u32 s14, s14, 8
	s_mov_b32 s1, 0
	s_addc_u32 s15, s15, 0
	v_cndmask_b32_e32 v3, v1, v3, vcc_lo
	v_cmp_gt_i32_e32 vcc_lo, 32, v23
	v_lshl_or_b32 v32, v2, 4, v29
	v_add_nc_u32_e32 v40, v28, v2
	s_delay_alu instid0(VALU_DEP_4)
	v_lshlrev_b32_e32 v36, 2, v3
	v_cndmask_b32_e32 v23, v1, v23, vcc_lo
	v_cmp_gt_i32_e32 vcc_lo, 32, v24
	v_dual_mov_b32 v2, v0 :: v_dual_add_nc_u32 v33, s18, v2
	v_dual_mov_b32 v3, v0 :: v_dual_cndmask_b32 v24, v1, v24
	v_cmp_gt_i32_e32 vcc_lo, 32, v25
	s_delay_alu instid0(VALU_DEP_2) | instskip(SKIP_1) | instid1(VALU_DEP_2)
	v_dual_cndmask_b32 v1, v1, v25 :: v_dual_lshlrev_b32 v38, 2, v24
	v_lshlrev_b32_e32 v37, 2, v23
	v_lshlrev_b32_e32 v39, 2, v1
	v_mov_b32_e32 v1, v0
	s_branch .LBB21_13
.LBB21_12:                              ;   in Loop: Header=BB21_13 Depth=1
	s_or_b32 exec_lo, exec_lo, s18
	ds_bpermute_b32 v20, v34, v21
	s_bcnt1_i32_b32 s0, vcc_lo
	s_delay_alu instid0(SALU_CYCLE_1) | instskip(NEXT) | instid1(VALU_DEP_1)
	v_add_co_u32 v30, s0, s0, v30
	v_add_co_ci_u32_e64 v31, s0, 0, v31, s0
	s_waitcnt lgkmcnt(0)
	v_min_i32_e32 v20, v20, v21
	ds_bpermute_b32 v21, v35, v20
	s_waitcnt lgkmcnt(0)
	v_min_i32_e32 v20, v21, v20
	ds_bpermute_b32 v21, v36, v20
	;; [unrolled: 3-line block ×5, first 2 shown]
	s_waitcnt lgkmcnt(0)
	v_min_i32_e32 v20, v21, v20
	s_delay_alu instid0(VALU_DEP_1) | instskip(NEXT) | instid1(VALU_DEP_1)
	v_ashrrev_i32_e32 v21, 31, v20
	v_cmp_le_i64_e32 vcc_lo, s[6:7], v[20:21]
	s_or_b32 s1, vcc_lo, s1
	s_delay_alu instid0(SALU_CYCLE_1)
	s_and_not1_b32 exec_lo, exec_lo, s1
	s_cbranch_execz .LBB21_35
.LBB21_13:                              ; =>This Loop Header: Depth=1
                                        ;     Child Loop BB21_16 Depth 2
                                        ;     Child Loop BB21_26 Depth 2
	v_mov_b32_e32 v21, v27
	s_mov_b32 s18, exec_lo
	ds_store_b8 v40, v0
	ds_store_b128 v32, v[0:3]
	s_waitcnt lgkmcnt(0)
	buffer_gl0_inv
	v_cmpx_lt_i64_e64 v[16:17], v[4:5]
	s_cbranch_execz .LBB21_23
; %bb.14:                               ;   in Loop: Header=BB21_13 Depth=1
	v_lshlrev_b64 v[23:24], 2, v[16:17]
	v_lshlrev_b64 v[25:26], 4, v[16:17]
	v_mov_b32_e32 v21, v27
	s_mov_b32 s19, 0
	s_delay_alu instid0(VALU_DEP_3) | instskip(NEXT) | instid1(VALU_DEP_4)
	v_add_co_u32 v23, vcc_lo, s10, v23
	v_add_co_ci_u32_e32 v24, vcc_lo, s11, v24, vcc_lo
	s_delay_alu instid0(VALU_DEP_4)
	v_add_co_u32 v25, vcc_lo, s2, v25
	v_add_co_ci_u32_e32 v26, vcc_lo, s3, v26, vcc_lo
	s_branch .LBB21_16
.LBB21_15:                              ;   in Loop: Header=BB21_16 Depth=2
	s_or_b32 exec_lo, exec_lo, s20
	s_delay_alu instid0(SALU_CYCLE_1) | instskip(NEXT) | instid1(SALU_CYCLE_1)
	s_and_b32 s0, exec_lo, s0
	s_or_b32 s19, s0, s19
	s_delay_alu instid0(SALU_CYCLE_1)
	s_and_not1_b32 exec_lo, exec_lo, s19
	s_cbranch_execz .LBB21_22
.LBB21_16:                              ;   Parent Loop BB21_13 Depth=1
                                        ; =>  This Inner Loop Header: Depth=2
	global_load_b32 v42, v[23:24], off
	s_waitcnt vmcnt(0)
	v_subrev_nc_u32_e32 v43, s16, v42
	s_delay_alu instid0(VALU_DEP_1) | instskip(NEXT) | instid1(VALU_DEP_1)
	v_sub_nc_u32_e32 v42, v43, v20
	v_cmp_gt_u32_e32 vcc_lo, 64, v42
	v_cmp_lt_u32_e64 s0, 63, v42
	s_delay_alu instid0(VALU_DEP_1) | instskip(NEXT) | instid1(SALU_CYCLE_1)
	s_and_saveexec_b32 s20, s0
	s_xor_b32 s0, exec_lo, s20
	s_cbranch_execnz .LBB21_19
; %bb.17:                               ;   in Loop: Header=BB21_16 Depth=2
	s_and_not1_saveexec_b32 s0, s0
	s_cbranch_execnz .LBB21_20
.LBB21_18:                              ;   in Loop: Header=BB21_16 Depth=2
	s_or_b32 exec_lo, exec_lo, s0
	s_mov_b32 s0, -1
	s_and_saveexec_b32 s20, vcc_lo
	s_cbranch_execz .LBB21_15
	s_branch .LBB21_21
.LBB21_19:                              ;   in Loop: Header=BB21_16 Depth=2
	v_min_i32_e32 v21, v43, v21
                                        ; implicit-def: $vgpr42
	s_and_not1_saveexec_b32 s0, s0
	s_cbranch_execz .LBB21_18
.LBB21_20:                              ;   in Loop: Header=BB21_16 Depth=2
	global_load_b128 v[43:46], v[25:26], off offset:-8
	s_waitcnt vmcnt(0)
	v_mul_f64 v[47:48], v[45:46], -v[12:13]
	v_mul_f64 v[49:50], v[10:11], v[45:46]
	s_delay_alu instid0(VALU_DEP_2) | instskip(NEXT) | instid1(VALU_DEP_2)
	v_fma_f64 v[45:46], v[10:11], v[43:44], v[47:48]
	v_fma_f64 v[47:48], v[12:13], v[43:44], v[49:50]
	v_add_nc_u32_e32 v43, v28, v42
	v_lshl_add_u32 v42, v42, 4, v29
	ds_store_b8 v43, v41
	ds_store_b128 v42, v[45:48]
	s_or_b32 exec_lo, exec_lo, s0
	s_mov_b32 s0, -1
	s_and_saveexec_b32 s20, vcc_lo
	s_cbranch_execz .LBB21_15
.LBB21_21:                              ;   in Loop: Header=BB21_16 Depth=2
	v_add_co_u32 v16, vcc_lo, v16, 64
	v_add_co_ci_u32_e32 v17, vcc_lo, 0, v17, vcc_lo
	v_add_co_u32 v23, vcc_lo, 0x100, v23
	v_add_co_ci_u32_e32 v24, vcc_lo, 0, v24, vcc_lo
	s_delay_alu instid0(VALU_DEP_3) | instskip(SKIP_1) | instid1(VALU_DEP_1)
	v_cmp_ge_i64_e32 vcc_lo, v[16:17], v[4:5]
	v_add_co_u32 v25, s0, 0x400, v25
	v_add_co_ci_u32_e64 v26, s0, 0, v26, s0
	s_or_not1_b32 s0, vcc_lo, exec_lo
	s_branch .LBB21_15
.LBB21_22:                              ;   in Loop: Header=BB21_13 Depth=1
	s_or_b32 exec_lo, exec_lo, s19
.LBB21_23:                              ;   in Loop: Header=BB21_13 Depth=1
	s_delay_alu instid0(SALU_CYCLE_1) | instskip(NEXT) | instid1(SALU_CYCLE_1)
	s_or_b32 exec_lo, exec_lo, s18
	s_mov_b32 s18, exec_lo
	s_waitcnt lgkmcnt(0)
	buffer_gl0_inv
	v_cmpx_lt_i64_e64 v[18:19], v[6:7]
	s_cbranch_execz .LBB21_33
; %bb.24:                               ;   in Loop: Header=BB21_13 Depth=1
	v_lshlrev_b64 v[23:24], 2, v[18:19]
	v_lshlrev_b64 v[25:26], 4, v[18:19]
	s_mov_b32 s19, 0
	s_delay_alu instid0(VALU_DEP_2) | instskip(NEXT) | instid1(VALU_DEP_3)
	v_add_co_u32 v23, vcc_lo, s12, v23
	v_add_co_ci_u32_e32 v24, vcc_lo, s13, v24, vcc_lo
	s_delay_alu instid0(VALU_DEP_3) | instskip(NEXT) | instid1(VALU_DEP_4)
	v_add_co_u32 v25, vcc_lo, s14, v25
	v_add_co_ci_u32_e32 v26, vcc_lo, s15, v26, vcc_lo
	s_branch .LBB21_26
.LBB21_25:                              ;   in Loop: Header=BB21_26 Depth=2
	s_or_b32 exec_lo, exec_lo, s20
	s_delay_alu instid0(SALU_CYCLE_1) | instskip(NEXT) | instid1(SALU_CYCLE_1)
	s_and_b32 s0, exec_lo, s0
	s_or_b32 s19, s0, s19
	s_delay_alu instid0(SALU_CYCLE_1)
	s_and_not1_b32 exec_lo, exec_lo, s19
	s_cbranch_execz .LBB21_32
.LBB21_26:                              ;   Parent Loop BB21_13 Depth=1
                                        ; =>  This Inner Loop Header: Depth=2
	global_load_b32 v42, v[23:24], off
	s_waitcnt vmcnt(0)
	v_subrev_nc_u32_e32 v43, s17, v42
	s_delay_alu instid0(VALU_DEP_1) | instskip(NEXT) | instid1(VALU_DEP_1)
	v_sub_nc_u32_e32 v42, v43, v20
	v_cmp_gt_u32_e32 vcc_lo, 64, v42
	v_cmp_lt_u32_e64 s0, 63, v42
	s_delay_alu instid0(VALU_DEP_1) | instskip(NEXT) | instid1(SALU_CYCLE_1)
	s_and_saveexec_b32 s20, s0
	s_xor_b32 s0, exec_lo, s20
	s_cbranch_execnz .LBB21_29
; %bb.27:                               ;   in Loop: Header=BB21_26 Depth=2
	s_and_not1_saveexec_b32 s0, s0
	s_cbranch_execnz .LBB21_30
.LBB21_28:                              ;   in Loop: Header=BB21_26 Depth=2
	s_or_b32 exec_lo, exec_lo, s0
	s_mov_b32 s0, -1
	s_and_saveexec_b32 s20, vcc_lo
	s_cbranch_execz .LBB21_25
	s_branch .LBB21_31
.LBB21_29:                              ;   in Loop: Header=BB21_26 Depth=2
	v_min_i32_e32 v21, v43, v21
                                        ; implicit-def: $vgpr42
	s_and_not1_saveexec_b32 s0, s0
	s_cbranch_execz .LBB21_28
.LBB21_30:                              ;   in Loop: Header=BB21_26 Depth=2
	global_load_b128 v[43:46], v[25:26], off offset:-8
	v_lshl_add_u32 v51, v42, 4, v29
	v_add_nc_u32_e32 v42, v28, v42
	ds_load_b128 v[47:50], v51
	s_waitcnt vmcnt(0) lgkmcnt(0)
	v_fma_f64 v[47:48], v[14:15], v[43:44], v[47:48]
	v_fma_f64 v[49:50], v[8:9], v[43:44], v[49:50]
	s_delay_alu instid0(VALU_DEP_2) | instskip(NEXT) | instid1(VALU_DEP_2)
	v_fma_f64 v[43:44], -v[8:9], v[45:46], v[47:48]
	v_fma_f64 v[45:46], v[14:15], v[45:46], v[49:50]
	ds_store_b8 v42, v41
	ds_store_b128 v51, v[43:46]
	s_or_b32 exec_lo, exec_lo, s0
	s_mov_b32 s0, -1
	s_and_saveexec_b32 s20, vcc_lo
	s_cbranch_execz .LBB21_25
.LBB21_31:                              ;   in Loop: Header=BB21_26 Depth=2
	v_add_co_u32 v18, vcc_lo, v18, 64
	v_add_co_ci_u32_e32 v19, vcc_lo, 0, v19, vcc_lo
	v_add_co_u32 v23, vcc_lo, 0x100, v23
	v_add_co_ci_u32_e32 v24, vcc_lo, 0, v24, vcc_lo
	s_delay_alu instid0(VALU_DEP_3) | instskip(SKIP_1) | instid1(VALU_DEP_1)
	v_cmp_ge_i64_e32 vcc_lo, v[18:19], v[6:7]
	v_add_co_u32 v25, s0, 0x400, v25
	v_add_co_ci_u32_e64 v26, s0, 0, v26, s0
	s_or_not1_b32 s0, vcc_lo, exec_lo
	s_branch .LBB21_25
.LBB21_32:                              ;   in Loop: Header=BB21_13 Depth=1
	s_or_b32 exec_lo, exec_lo, s19
.LBB21_33:                              ;   in Loop: Header=BB21_13 Depth=1
	s_delay_alu instid0(SALU_CYCLE_1)
	s_or_b32 exec_lo, exec_lo, s18
	s_waitcnt lgkmcnt(0)
	buffer_gl0_inv
	ds_load_u8 v23, v40
	s_mov_b32 s18, exec_lo
	s_waitcnt lgkmcnt(0)
	v_and_b32_e32 v24, 1, v23
	v_cmp_ne_u16_e32 vcc_lo, 0, v23
	s_delay_alu instid0(VALU_DEP_2)
	v_cmpx_eq_u32_e32 1, v24
	s_cbranch_execz .LBB21_12
; %bb.34:                               ;   in Loop: Header=BB21_13 Depth=1
	v_and_b32_e32 v23, vcc_lo, v22
	v_add_nc_u32_e32 v20, v33, v20
	s_delay_alu instid0(VALU_DEP_2) | instskip(NEXT) | instid1(VALU_DEP_1)
	v_bcnt_u32_b32 v23, v23, 0
	v_add_co_u32 v42, s0, v30, v23
	s_delay_alu instid0(VALU_DEP_1) | instskip(SKIP_3) | instid1(VALU_DEP_2)
	v_add_co_ci_u32_e64 v43, s0, 0, v31, s0
	ds_load_2addr_b64 v[23:26], v32 offset1:1
	v_lshlrev_b64 v[44:45], 2, v[42:43]
	v_lshlrev_b64 v[42:43], 4, v[42:43]
	v_add_co_u32 v44, s0, s4, v44
	s_delay_alu instid0(VALU_DEP_1) | instskip(NEXT) | instid1(VALU_DEP_3)
	v_add_co_ci_u32_e64 v45, s0, s5, v45, s0
	v_add_co_u32 v42, s0, s8, v42
	s_delay_alu instid0(VALU_DEP_1)
	v_add_co_ci_u32_e64 v43, s0, s9, v43, s0
	global_store_b32 v[44:45], v20, off
	s_waitcnt lgkmcnt(0)
	global_store_b128 v[42:43], v[23:26], off
	s_branch .LBB21_12
.LBB21_35:
	s_nop 0
	s_sendmsg sendmsg(MSG_DEALLOC_VGPRS)
	s_endpgm
	.section	.rodata,"a",@progbits
	.p2align	6, 0x0
	.amdhsa_kernel _ZN9rocsparseL29csrgeam_fill_multipass_kernelILj256ELj64Eli21rocsparse_complex_numIdEEEvllNS_24const_host_device_scalarIT3_EEPKT1_PKT2_PKS4_S5_S8_SB_SD_S8_PS9_PS4_21rocsparse_index_base_SG_SG_bbb
		.amdhsa_group_segment_fixed_size 8448
		.amdhsa_private_segment_fixed_size 0
		.amdhsa_kernarg_size 136
		.amdhsa_user_sgpr_count 15
		.amdhsa_user_sgpr_dispatch_ptr 1
		.amdhsa_user_sgpr_queue_ptr 0
		.amdhsa_user_sgpr_kernarg_segment_ptr 1
		.amdhsa_user_sgpr_dispatch_id 0
		.amdhsa_user_sgpr_private_segment_size 0
		.amdhsa_wavefront_size32 1
		.amdhsa_uses_dynamic_stack 0
		.amdhsa_enable_private_segment 0
		.amdhsa_system_sgpr_workgroup_id_x 1
		.amdhsa_system_sgpr_workgroup_id_y 0
		.amdhsa_system_sgpr_workgroup_id_z 0
		.amdhsa_system_sgpr_workgroup_info 0
		.amdhsa_system_vgpr_workitem_id 2
		.amdhsa_next_free_vgpr 52
		.amdhsa_next_free_sgpr 26
		.amdhsa_reserve_vcc 1
		.amdhsa_float_round_mode_32 0
		.amdhsa_float_round_mode_16_64 0
		.amdhsa_float_denorm_mode_32 3
		.amdhsa_float_denorm_mode_16_64 3
		.amdhsa_dx10_clamp 1
		.amdhsa_ieee_mode 1
		.amdhsa_fp16_overflow 0
		.amdhsa_workgroup_processor_mode 1
		.amdhsa_memory_ordered 1
		.amdhsa_forward_progress 0
		.amdhsa_shared_vgpr_count 0
		.amdhsa_exception_fp_ieee_invalid_op 0
		.amdhsa_exception_fp_denorm_src 0
		.amdhsa_exception_fp_ieee_div_zero 0
		.amdhsa_exception_fp_ieee_overflow 0
		.amdhsa_exception_fp_ieee_underflow 0
		.amdhsa_exception_fp_ieee_inexact 0
		.amdhsa_exception_int_div_zero 0
	.end_amdhsa_kernel
	.section	.text._ZN9rocsparseL29csrgeam_fill_multipass_kernelILj256ELj64Eli21rocsparse_complex_numIdEEEvllNS_24const_host_device_scalarIT3_EEPKT1_PKT2_PKS4_S5_S8_SB_SD_S8_PS9_PS4_21rocsparse_index_base_SG_SG_bbb,"axG",@progbits,_ZN9rocsparseL29csrgeam_fill_multipass_kernelILj256ELj64Eli21rocsparse_complex_numIdEEEvllNS_24const_host_device_scalarIT3_EEPKT1_PKT2_PKS4_S5_S8_SB_SD_S8_PS9_PS4_21rocsparse_index_base_SG_SG_bbb,comdat
.Lfunc_end21:
	.size	_ZN9rocsparseL29csrgeam_fill_multipass_kernelILj256ELj64Eli21rocsparse_complex_numIdEEEvllNS_24const_host_device_scalarIT3_EEPKT1_PKT2_PKS4_S5_S8_SB_SD_S8_PS9_PS4_21rocsparse_index_base_SG_SG_bbb, .Lfunc_end21-_ZN9rocsparseL29csrgeam_fill_multipass_kernelILj256ELj64Eli21rocsparse_complex_numIdEEEvllNS_24const_host_device_scalarIT3_EEPKT1_PKT2_PKS4_S5_S8_SB_SD_S8_PS9_PS4_21rocsparse_index_base_SG_SG_bbb
                                        ; -- End function
	.section	.AMDGPU.csdata,"",@progbits
; Kernel info:
; codeLenInByte = 2160
; NumSgprs: 28
; NumVgprs: 52
; ScratchSize: 0
; MemoryBound: 0
; FloatMode: 240
; IeeeMode: 1
; LDSByteSize: 8448 bytes/workgroup (compile time only)
; SGPRBlocks: 3
; VGPRBlocks: 6
; NumSGPRsForWavesPerEU: 28
; NumVGPRsForWavesPerEU: 52
; Occupancy: 16
; WaveLimiterHint : 1
; COMPUTE_PGM_RSRC2:SCRATCH_EN: 0
; COMPUTE_PGM_RSRC2:USER_SGPR: 15
; COMPUTE_PGM_RSRC2:TRAP_HANDLER: 0
; COMPUTE_PGM_RSRC2:TGID_X_EN: 1
; COMPUTE_PGM_RSRC2:TGID_Y_EN: 0
; COMPUTE_PGM_RSRC2:TGID_Z_EN: 0
; COMPUTE_PGM_RSRC2:TIDIG_COMP_CNT: 2
	.section	.text._ZN9rocsparseL29csrgeam_fill_multipass_kernelILj256ELj32Ell21rocsparse_complex_numIdEEEvllNS_24const_host_device_scalarIT3_EEPKT1_PKT2_PKS4_S5_S8_SB_SD_S8_PS9_PS4_21rocsparse_index_base_SG_SG_bbb,"axG",@progbits,_ZN9rocsparseL29csrgeam_fill_multipass_kernelILj256ELj32Ell21rocsparse_complex_numIdEEEvllNS_24const_host_device_scalarIT3_EEPKT1_PKT2_PKS4_S5_S8_SB_SD_S8_PS9_PS4_21rocsparse_index_base_SG_SG_bbb,comdat
	.globl	_ZN9rocsparseL29csrgeam_fill_multipass_kernelILj256ELj32Ell21rocsparse_complex_numIdEEEvllNS_24const_host_device_scalarIT3_EEPKT1_PKT2_PKS4_S5_S8_SB_SD_S8_PS9_PS4_21rocsparse_index_base_SG_SG_bbb ; -- Begin function _ZN9rocsparseL29csrgeam_fill_multipass_kernelILj256ELj32Ell21rocsparse_complex_numIdEEEvllNS_24const_host_device_scalarIT3_EEPKT1_PKT2_PKS4_S5_S8_SB_SD_S8_PS9_PS4_21rocsparse_index_base_SG_SG_bbb
	.p2align	8
	.type	_ZN9rocsparseL29csrgeam_fill_multipass_kernelILj256ELj32Ell21rocsparse_complex_numIdEEEvllNS_24const_host_device_scalarIT3_EEPKT1_PKT2_PKS4_S5_S8_SB_SD_S8_PS9_PS4_21rocsparse_index_base_SG_SG_bbb,@function
_ZN9rocsparseL29csrgeam_fill_multipass_kernelILj256ELj32Ell21rocsparse_complex_numIdEEEvllNS_24const_host_device_scalarIT3_EEPKT1_PKT2_PKS4_S5_S8_SB_SD_S8_PS9_PS4_21rocsparse_index_base_SG_SG_bbb: ; @_ZN9rocsparseL29csrgeam_fill_multipass_kernelILj256ELj32Ell21rocsparse_complex_numIdEEEvllNS_24const_host_device_scalarIT3_EEPKT1_PKT2_PKS4_S5_S8_SB_SD_S8_PS9_PS4_21rocsparse_index_base_SG_SG_bbb
; %bb.0:
	s_load_b32 s12, s[2:3], 0x84
	s_load_b64 s[24:25], s[0:1], 0x4
	s_load_b256 s[4:11], s[2:3], 0x0
	v_and_b32_e32 v24, 0x3ff, v0
	s_clause 0x1
	s_load_b128 s[20:23], s[2:3], 0x38
	s_load_b128 s[16:19], s[2:3], 0x78
	v_mov_b32_e32 v8, 0
	v_mov_b32_e32 v9, 0
	v_bfe_u32 v2, v0, 10, 10
	v_bfe_u32 v0, v0, 20, 10
	s_delay_alu instid0(VALU_DEP_3)
	v_dual_mov_b32 v11, v9 :: v_dual_mov_b32 v10, v8
	v_dual_mov_b32 v13, v9 :: v_dual_mov_b32 v12, v8
	s_waitcnt lgkmcnt(0)
	s_bitcmp1_b32 s12, 16
	s_cselect_b32 s0, -1, 0
	s_lshr_b32 s1, s24, 16
	v_mov_b32_e32 v3, s20
	s_mul_i32 s1, s1, s25
	s_delay_alu instid0(SALU_CYCLE_1) | instskip(SKIP_3) | instid1(VALU_DEP_2)
	v_mul_lo_u32 v1, s1, v24
	s_xor_b32 s1, s0, -1
	s_bitcmp0_b32 s19, 0
	v_cndmask_b32_e64 v5, 0, 1, s1
	v_mad_u32_u24 v1, v2, s25, v1
	s_delay_alu instid0(VALU_DEP_2) | instskip(NEXT) | instid1(VALU_DEP_2)
	v_cmp_ne_u32_e32 vcc_lo, 1, v5
	v_add_lshl_u32 v0, v1, v0, 3
	v_dual_mov_b32 v1, s8 :: v_dual_mov_b32 v2, s9
	s_delay_alu instid0(VALU_DEP_2)
	v_dual_mov_b32 v4, s21 :: v_dual_add_nc_u32 v5, 0x100, v0
	ds_store_2addr_stride64_b64 v5, v[3:4], v[1:2] offset0:8 offset1:12
	s_cbranch_scc1 .LBB22_3
; %bb.1:
	s_mov_b64 s[24:25], src_shared_base
	s_and_b32 s13, s0, exec_lo
	s_cselect_b32 s13, s25, s9
	s_delay_alu instid0(SALU_CYCLE_1) | instskip(SKIP_2) | instid1(VALU_DEP_2)
	v_dual_mov_b32 v2, s13 :: v_dual_add_nc_u32 v1, 0x1900, v0
	v_dual_mov_b32 v13, s11 :: v_dual_mov_b32 v12, s10
	s_and_b32 vcc_lo, exec_lo, vcc_lo
	v_cndmask_b32_e64 v1, s8, v1, s0
	flat_load_b64 v[10:11], v[1:2]
	s_cbranch_vccnz .LBB22_3
; %bb.2:
	v_dual_mov_b32 v1, s8 :: v_dual_mov_b32 v2, s9
	flat_load_b64 v[12:13], v[1:2] offset:8
.LBB22_3:
	v_dual_mov_b32 v15, v9 :: v_dual_mov_b32 v14, v8
	s_bfe_u32 s8, s12, 0x10008
	s_delay_alu instid0(SALU_CYCLE_1)
	s_cmp_eq_u32 s8, 0
	s_cbranch_scc1 .LBB22_6
; %bb.4:
	s_mov_b64 s[8:9], src_shared_base
	s_and_b32 s8, s0, exec_lo
	s_cselect_b32 s8, s9, s21
	s_delay_alu instid0(SALU_CYCLE_1) | instskip(SKIP_2) | instid1(VALU_DEP_2)
	v_dual_mov_b32 v1, s8 :: v_dual_add_nc_u32 v0, 0x1100, v0
	v_dual_mov_b32 v8, s22 :: v_dual_mov_b32 v9, s23
	s_and_not1_b32 vcc_lo, exec_lo, s1
	v_cndmask_b32_e64 v0, s20, v0, s0
	flat_load_b64 v[14:15], v[0:1]
	s_cbranch_vccnz .LBB22_6
; %bb.5:
	v_dual_mov_b32 v0, s20 :: v_dual_mov_b32 v1, s21
	flat_load_b64 v[8:9], v[0:1] offset:8
.LBB22_6:
	v_lshrrev_b32_e32 v0, 5, v24
	s_lshl_b32 s0, s15, 3
	v_mov_b32_e32 v1, 0
	s_delay_alu instid0(VALU_DEP_2) | instskip(SKIP_1) | instid1(VALU_DEP_1)
	v_and_or_b32 v0, 0x7fffff8, s0, v0
	s_mov_b32 s0, exec_lo
	v_cmpx_gt_i64_e64 s[4:5], v[0:1]
	s_cbranch_execz .LBB22_35
; %bb.7:
	s_clause 0x1
	s_load_b128 s[20:23], s[2:3], 0x20
	s_load_b256 s[8:15], s[2:3], 0x48
	v_lshlrev_b32_e32 v16, 3, v0
	s_clause 0x1
	s_load_b64 s[4:5], s[2:3], 0x30
	s_load_b128 s[24:27], s[2:3], 0x68
	s_waitcnt lgkmcnt(0)
	s_clause 0x2
	global_load_b128 v[0:3], v16, s[20:21]
	global_load_b128 v[4:7], v16, s[8:9]
	global_load_b64 v[18:19], v16, s[14:15]
	s_waitcnt vmcnt(2)
	v_sub_co_u32 v16, vcc_lo, v0, s16
	v_subrev_co_ci_u32_e32 v17, vcc_lo, 0, v1, vcc_lo
	v_cmp_lt_i64_e32 vcc_lo, v[0:1], v[2:3]
	v_dual_mov_b32 v0, s6 :: v_dual_mov_b32 v1, s7
	s_and_saveexec_b32 s0, vcc_lo
	s_cbranch_execz .LBB22_9
; %bb.8:
	v_lshlrev_b64 v[0:1], 3, v[16:17]
	s_delay_alu instid0(VALU_DEP_1) | instskip(NEXT) | instid1(VALU_DEP_2)
	v_add_co_u32 v0, vcc_lo, s22, v0
	v_add_co_ci_u32_e32 v1, vcc_lo, s23, v1, vcc_lo
	global_load_b64 v[0:1], v[0:1], off
	s_waitcnt vmcnt(0)
	v_sub_co_u32 v0, vcc_lo, v0, s16
	v_subrev_co_ci_u32_e32 v1, vcc_lo, 0, v1, vcc_lo
.LBB22_9:
	s_or_b32 exec_lo, exec_lo, s0
	s_waitcnt vmcnt(1)
	v_sub_co_u32 v22, vcc_lo, v4, s17
	v_subrev_co_ci_u32_e32 v23, vcc_lo, 0, v5, vcc_lo
	v_dual_mov_b32 v21, s7 :: v_dual_mov_b32 v20, s6
	s_mov_b32 s1, s17
	s_mov_b32 s0, exec_lo
	v_cmpx_lt_i64_e64 v[4:5], v[6:7]
	s_cbranch_execz .LBB22_11
; %bb.10:
	v_lshlrev_b64 v[4:5], 3, v[22:23]
	s_delay_alu instid0(VALU_DEP_1) | instskip(NEXT) | instid1(VALU_DEP_2)
	v_add_co_u32 v4, vcc_lo, s10, v4
	v_add_co_ci_u32_e32 v5, vcc_lo, s11, v5, vcc_lo
	global_load_b64 v[4:5], v[4:5], off
	s_waitcnt vmcnt(0)
	v_sub_co_u32 v20, vcc_lo, v4, s1
	v_subrev_co_ci_u32_e32 v21, vcc_lo, 0, v5, vcc_lo
.LBB22_11:
	s_or_b32 exec_lo, exec_lo, s0
	v_and_b32_e32 v4, 0xe0, v24
	s_waitcnt vmcnt(0)
	v_sub_co_u32 v34, s0, v18, s18
	s_delay_alu instid0(VALU_DEP_1) | instskip(NEXT) | instid1(VALU_DEP_3)
	v_subrev_co_ci_u32_e64 v35, s0, 0, v19, s0
	v_or_b32_e32 v32, 0x1000, v4
	v_lshlrev_b32_e32 v33, 4, v4
	v_sub_co_u32 v4, vcc_lo, v2, s16
	v_subrev_co_ci_u32_e32 v5, vcc_lo, 0, v3, vcc_lo
	v_sub_co_u32 v6, vcc_lo, v6, s1
	v_subrev_co_ci_u32_e32 v7, vcc_lo, 0, v7, vcc_lo
	v_cmp_lt_i64_e32 vcc_lo, v[20:21], v[0:1]
	s_add_u32 s3, s24, -8
	s_addc_u32 s8, s25, -1
	s_add_u32 s9, s26, -16
	s_addc_u32 s14, s27, -1
	s_add_u32 s4, s4, 8
	v_cndmask_b32_e32 v21, v1, v21, vcc_lo
	v_mbcnt_lo_u32_b32 v1, -1, 0
	v_and_b32_e32 v2, 31, v24
	v_cndmask_b32_e32 v20, v0, v20, vcc_lo
	v_mov_b32_e32 v0, 0
	s_addc_u32 s5, s5, 0
	v_xor_b32_e32 v24, 2, v1
	v_xor_b32_e32 v3, 31, v2
	v_add_co_u32 v16, vcc_lo, v16, v2
	v_add_co_ci_u32_e32 v17, vcc_lo, 0, v17, vcc_lo
	s_delay_alu instid0(VALU_DEP_3) | instskip(SKIP_4) | instid1(VALU_DEP_4)
	v_lshrrev_b32_e64 v37, v3, -1
	v_xor_b32_e32 v3, 16, v1
	v_add_co_u32 v18, vcc_lo, v22, v2
	v_add_co_ci_u32_e32 v19, vcc_lo, 0, v23, vcc_lo
	v_xor_b32_e32 v22, 8, v1
	v_cmp_gt_i32_e32 vcc_lo, 32, v3
	v_xor_b32_e32 v23, 4, v1
	v_xor_b32_e32 v25, 1, v1
	v_mov_b32_e32 v46, 1
	s_add_u32 s12, s12, 8
	v_cndmask_b32_e32 v3, v1, v3, vcc_lo
	v_cmp_gt_i32_e32 vcc_lo, 32, v22
	v_add_co_u32 v38, s0, s18, v2
	v_lshl_or_b32 v36, v2, 4, v33
	v_add_co_ci_u32_e64 v39, null, 0, 0, s0
	v_cndmask_b32_e32 v22, v1, v22, vcc_lo
	v_cmp_gt_i32_e32 vcc_lo, 32, v23
	v_add_nc_u32_e32 v45, v32, v2
	v_mov_b32_e32 v2, v0
	s_mov_b32 s2, 0
	v_lshlrev_b32_e32 v40, 2, v3
	v_cndmask_b32_e32 v23, v1, v23, vcc_lo
	v_cmp_gt_i32_e32 vcc_lo, 32, v24
	s_addc_u32 s13, s13, 0
	s_delay_alu instid0(VALU_DEP_2) | instskip(SKIP_2) | instid1(VALU_DEP_2)
	v_dual_mov_b32 v3, v0 :: v_dual_lshlrev_b32 v42, 2, v23
	v_cndmask_b32_e32 v24, v1, v24, vcc_lo
	v_cmp_gt_i32_e32 vcc_lo, 32, v25
	v_lshlrev_b32_e32 v43, 2, v24
	v_lshlrev_b32_e32 v41, 2, v22
	v_cndmask_b32_e32 v1, v1, v25, vcc_lo
	s_delay_alu instid0(VALU_DEP_1)
	v_dual_mov_b32 v1, v0 :: v_dual_lshlrev_b32 v44, 2, v1
	s_branch .LBB22_13
.LBB22_12:                              ;   in Loop: Header=BB22_13 Depth=1
	s_or_b32 exec_lo, exec_lo, s15
	ds_bpermute_b32 v20, v40, v22
	ds_bpermute_b32 v21, v40, v23
	s_waitcnt lgkmcnt(0)
	v_cmp_lt_i64_e64 s0, v[20:21], v[22:23]
	s_delay_alu instid0(VALU_DEP_1)
	v_cndmask_b32_e64 v21, v23, v21, s0
	v_cndmask_b32_e64 v20, v22, v20, s0
	ds_bpermute_b32 v23, v41, v21
	ds_bpermute_b32 v22, v41, v20
	s_waitcnt lgkmcnt(0)
	v_cmp_lt_i64_e64 s0, v[22:23], v[20:21]
	s_delay_alu instid0(VALU_DEP_1)
	v_cndmask_b32_e64 v21, v21, v23, s0
	v_cndmask_b32_e64 v20, v20, v22, s0
	;; [unrolled: 7-line block ×4, first 2 shown]
	ds_bpermute_b32 v23, v44, v21
	ds_bpermute_b32 v22, v44, v20
	s_waitcnt lgkmcnt(0)
	v_cmp_lt_i64_e64 s0, v[22:23], v[20:21]
	s_delay_alu instid0(VALU_DEP_1) | instskip(SKIP_2) | instid1(SALU_CYCLE_1)
	v_cndmask_b32_e64 v21, v21, v23, s0
	v_cndmask_b32_e64 v20, v20, v22, s0
	s_bcnt1_i32_b32 s0, vcc_lo
	v_add_co_u32 v34, s0, v34, s0
	s_delay_alu instid0(VALU_DEP_2) | instskip(SKIP_2) | instid1(SALU_CYCLE_1)
	v_cmp_le_i64_e32 vcc_lo, s[6:7], v[20:21]
	v_add_co_ci_u32_e64 v35, s0, 0, v35, s0
	s_or_b32 s2, vcc_lo, s2
	s_and_not1_b32 exec_lo, exec_lo, s2
	s_cbranch_execz .LBB22_35
.LBB22_13:                              ; =>This Loop Header: Depth=1
                                        ;     Child Loop BB22_16 Depth 2
                                        ;     Child Loop BB22_26 Depth 2
	v_dual_mov_b32 v23, s7 :: v_dual_mov_b32 v22, s6
	s_mov_b32 s15, exec_lo
	ds_store_b8 v45, v0
	ds_store_b128 v36, v[0:3]
	s_waitcnt lgkmcnt(0)
	buffer_gl0_inv
	v_cmpx_lt_i64_e64 v[16:17], v[4:5]
	s_cbranch_execz .LBB22_23
; %bb.14:                               ;   in Loop: Header=BB22_13 Depth=1
	v_lshlrev_b64 v[22:23], 3, v[16:17]
	v_lshlrev_b64 v[26:27], 4, v[16:17]
	s_mov_b32 s17, 0
	s_delay_alu instid0(VALU_DEP_2) | instskip(NEXT) | instid1(VALU_DEP_3)
	v_add_co_u32 v24, vcc_lo, s22, v22
	v_add_co_ci_u32_e32 v25, vcc_lo, s23, v23, vcc_lo
	s_delay_alu instid0(VALU_DEP_3) | instskip(NEXT) | instid1(VALU_DEP_4)
	v_add_co_u32 v26, vcc_lo, s4, v26
	v_add_co_ci_u32_e32 v27, vcc_lo, s5, v27, vcc_lo
	v_dual_mov_b32 v23, s7 :: v_dual_mov_b32 v22, s6
	s_branch .LBB22_16
.LBB22_15:                              ;   in Loop: Header=BB22_16 Depth=2
	s_or_b32 exec_lo, exec_lo, s18
	s_delay_alu instid0(SALU_CYCLE_1) | instskip(NEXT) | instid1(SALU_CYCLE_1)
	s_and_b32 s0, exec_lo, s0
	s_or_b32 s17, s0, s17
	s_delay_alu instid0(SALU_CYCLE_1)
	s_and_not1_b32 exec_lo, exec_lo, s17
	s_cbranch_execz .LBB22_22
.LBB22_16:                              ;   Parent Loop BB22_13 Depth=1
                                        ; =>  This Inner Loop Header: Depth=2
	global_load_b64 v[28:29], v[24:25], off
	s_mov_b32 s18, exec_lo
	s_waitcnt vmcnt(0)
	v_sub_co_u32 v30, vcc_lo, v28, s16
	v_subrev_co_ci_u32_e32 v31, vcc_lo, 0, v29, vcc_lo
	s_delay_alu instid0(VALU_DEP_2) | instskip(NEXT) | instid1(VALU_DEP_2)
	v_sub_co_u32 v28, vcc_lo, v30, v20
	v_sub_co_ci_u32_e32 v29, vcc_lo, v31, v21, vcc_lo
	s_delay_alu instid0(VALU_DEP_1)
	v_cmp_gt_i64_e32 vcc_lo, 32, v[28:29]
	v_cmpx_lt_i64_e32 31, v[28:29]
	s_xor_b32 s18, exec_lo, s18
	s_cbranch_execnz .LBB22_19
; %bb.17:                               ;   in Loop: Header=BB22_16 Depth=2
	s_and_not1_saveexec_b32 s0, s18
	s_cbranch_execnz .LBB22_20
.LBB22_18:                              ;   in Loop: Header=BB22_16 Depth=2
	s_or_b32 exec_lo, exec_lo, s0
	s_mov_b32 s0, -1
	s_and_saveexec_b32 s18, vcc_lo
	s_cbranch_execz .LBB22_15
	s_branch .LBB22_21
.LBB22_19:                              ;   in Loop: Header=BB22_16 Depth=2
	v_cmp_lt_i64_e64 s0, v[30:31], v[22:23]
                                        ; implicit-def: $vgpr28
	s_delay_alu instid0(VALU_DEP_1)
	v_cndmask_b32_e64 v23, v23, v31, s0
	v_cndmask_b32_e64 v22, v22, v30, s0
	s_and_not1_saveexec_b32 s0, s18
	s_cbranch_execz .LBB22_18
.LBB22_20:                              ;   in Loop: Header=BB22_16 Depth=2
	global_load_b128 v[47:50], v[26:27], off offset:-8
	s_waitcnt vmcnt(0)
	v_mul_f64 v[29:30], v[49:50], -v[12:13]
	v_mul_f64 v[51:52], v[10:11], v[49:50]
	s_delay_alu instid0(VALU_DEP_2) | instskip(NEXT) | instid1(VALU_DEP_2)
	v_fma_f64 v[49:50], v[10:11], v[47:48], v[29:30]
	v_fma_f64 v[51:52], v[12:13], v[47:48], v[51:52]
	v_add_nc_u32_e32 v29, v32, v28
	v_lshl_add_u32 v28, v28, 4, v33
	ds_store_b8 v29, v46
	ds_store_b128 v28, v[49:52]
	s_or_b32 exec_lo, exec_lo, s0
	s_mov_b32 s0, -1
	s_and_saveexec_b32 s18, vcc_lo
	s_cbranch_execz .LBB22_15
.LBB22_21:                              ;   in Loop: Header=BB22_16 Depth=2
	v_add_co_u32 v16, vcc_lo, v16, 32
	v_add_co_ci_u32_e32 v17, vcc_lo, 0, v17, vcc_lo
	v_add_co_u32 v24, vcc_lo, 0x100, v24
	v_add_co_ci_u32_e32 v25, vcc_lo, 0, v25, vcc_lo
	s_delay_alu instid0(VALU_DEP_3) | instskip(SKIP_1) | instid1(VALU_DEP_1)
	v_cmp_ge_i64_e32 vcc_lo, v[16:17], v[4:5]
	v_add_co_u32 v26, s0, 0x200, v26
	v_add_co_ci_u32_e64 v27, s0, 0, v27, s0
	s_or_not1_b32 s0, vcc_lo, exec_lo
	s_branch .LBB22_15
.LBB22_22:                              ;   in Loop: Header=BB22_13 Depth=1
	s_or_b32 exec_lo, exec_lo, s17
.LBB22_23:                              ;   in Loop: Header=BB22_13 Depth=1
	s_delay_alu instid0(SALU_CYCLE_1) | instskip(NEXT) | instid1(SALU_CYCLE_1)
	s_or_b32 exec_lo, exec_lo, s15
	s_mov_b32 s15, exec_lo
	s_waitcnt lgkmcnt(0)
	buffer_gl0_inv
	v_cmpx_lt_i64_e64 v[18:19], v[6:7]
	s_cbranch_execz .LBB22_33
; %bb.24:                               ;   in Loop: Header=BB22_13 Depth=1
	v_lshlrev_b64 v[24:25], 3, v[18:19]
	v_lshlrev_b64 v[26:27], 4, v[18:19]
	s_mov_b32 s17, 0
	s_delay_alu instid0(VALU_DEP_2) | instskip(NEXT) | instid1(VALU_DEP_3)
	v_add_co_u32 v24, vcc_lo, s10, v24
	v_add_co_ci_u32_e32 v25, vcc_lo, s11, v25, vcc_lo
	s_delay_alu instid0(VALU_DEP_3) | instskip(NEXT) | instid1(VALU_DEP_4)
	v_add_co_u32 v26, vcc_lo, s12, v26
	v_add_co_ci_u32_e32 v27, vcc_lo, s13, v27, vcc_lo
	s_branch .LBB22_26
.LBB22_25:                              ;   in Loop: Header=BB22_26 Depth=2
	s_or_b32 exec_lo, exec_lo, s18
	s_delay_alu instid0(SALU_CYCLE_1) | instskip(NEXT) | instid1(SALU_CYCLE_1)
	s_and_b32 s0, exec_lo, s0
	s_or_b32 s17, s0, s17
	s_delay_alu instid0(SALU_CYCLE_1)
	s_and_not1_b32 exec_lo, exec_lo, s17
	s_cbranch_execz .LBB22_32
.LBB22_26:                              ;   Parent Loop BB22_13 Depth=1
                                        ; =>  This Inner Loop Header: Depth=2
	global_load_b64 v[28:29], v[24:25], off
	s_mov_b32 s18, exec_lo
	s_waitcnt vmcnt(0)
	v_sub_co_u32 v30, vcc_lo, v28, s1
	v_subrev_co_ci_u32_e32 v31, vcc_lo, 0, v29, vcc_lo
	s_delay_alu instid0(VALU_DEP_2) | instskip(NEXT) | instid1(VALU_DEP_2)
	v_sub_co_u32 v28, vcc_lo, v30, v20
	v_sub_co_ci_u32_e32 v29, vcc_lo, v31, v21, vcc_lo
	s_delay_alu instid0(VALU_DEP_1)
	v_cmp_gt_i64_e32 vcc_lo, 32, v[28:29]
	v_cmpx_lt_i64_e32 31, v[28:29]
	s_xor_b32 s18, exec_lo, s18
	s_cbranch_execnz .LBB22_29
; %bb.27:                               ;   in Loop: Header=BB22_26 Depth=2
	s_and_not1_saveexec_b32 s0, s18
	s_cbranch_execnz .LBB22_30
.LBB22_28:                              ;   in Loop: Header=BB22_26 Depth=2
	s_or_b32 exec_lo, exec_lo, s0
	s_mov_b32 s0, -1
	s_and_saveexec_b32 s18, vcc_lo
	s_cbranch_execz .LBB22_25
	s_branch .LBB22_31
.LBB22_29:                              ;   in Loop: Header=BB22_26 Depth=2
	v_cmp_lt_i64_e64 s0, v[30:31], v[22:23]
                                        ; implicit-def: $vgpr28
	s_delay_alu instid0(VALU_DEP_1)
	v_cndmask_b32_e64 v23, v23, v31, s0
	v_cndmask_b32_e64 v22, v22, v30, s0
	s_and_not1_saveexec_b32 s0, s18
	s_cbranch_execz .LBB22_28
.LBB22_30:                              ;   in Loop: Header=BB22_26 Depth=2
	global_load_b128 v[47:50], v[26:27], off offset:-8
	v_lshl_add_u32 v31, v28, 4, v33
	v_add_nc_u32_e32 v28, v32, v28
	ds_load_b128 v[51:54], v31
	s_waitcnt vmcnt(0) lgkmcnt(0)
	v_fma_f64 v[29:30], v[14:15], v[47:48], v[51:52]
	v_fma_f64 v[51:52], v[8:9], v[47:48], v[53:54]
	s_delay_alu instid0(VALU_DEP_2) | instskip(NEXT) | instid1(VALU_DEP_2)
	v_fma_f64 v[47:48], -v[8:9], v[49:50], v[29:30]
	v_fma_f64 v[49:50], v[14:15], v[49:50], v[51:52]
	ds_store_b8 v28, v46
	ds_store_b128 v31, v[47:50]
	s_or_b32 exec_lo, exec_lo, s0
	s_mov_b32 s0, -1
	s_and_saveexec_b32 s18, vcc_lo
	s_cbranch_execz .LBB22_25
.LBB22_31:                              ;   in Loop: Header=BB22_26 Depth=2
	v_add_co_u32 v18, vcc_lo, v18, 32
	v_add_co_ci_u32_e32 v19, vcc_lo, 0, v19, vcc_lo
	v_add_co_u32 v24, vcc_lo, 0x100, v24
	v_add_co_ci_u32_e32 v25, vcc_lo, 0, v25, vcc_lo
	s_delay_alu instid0(VALU_DEP_3) | instskip(SKIP_1) | instid1(VALU_DEP_1)
	v_cmp_ge_i64_e32 vcc_lo, v[18:19], v[6:7]
	v_add_co_u32 v26, s0, 0x200, v26
	v_add_co_ci_u32_e64 v27, s0, 0, v27, s0
	s_or_not1_b32 s0, vcc_lo, exec_lo
	s_branch .LBB22_25
.LBB22_32:                              ;   in Loop: Header=BB22_13 Depth=1
	s_or_b32 exec_lo, exec_lo, s17
.LBB22_33:                              ;   in Loop: Header=BB22_13 Depth=1
	s_delay_alu instid0(SALU_CYCLE_1)
	s_or_b32 exec_lo, exec_lo, s15
	s_waitcnt lgkmcnt(0)
	buffer_gl0_inv
	ds_load_u8 v24, v45
	s_mov_b32 s15, exec_lo
	s_waitcnt lgkmcnt(0)
	v_and_b32_e32 v25, 1, v24
	v_cmp_ne_u16_e32 vcc_lo, 0, v24
	s_delay_alu instid0(VALU_DEP_2)
	v_cmpx_eq_u32_e32 1, v25
	s_cbranch_execz .LBB22_12
; %bb.34:                               ;   in Loop: Header=BB22_13 Depth=1
	v_and_b32_e32 v24, vcc_lo, v37
	s_delay_alu instid0(VALU_DEP_1) | instskip(NEXT) | instid1(VALU_DEP_1)
	v_bcnt_u32_b32 v24, v24, 0
	v_add_co_u32 v28, s0, v34, v24
	s_delay_alu instid0(VALU_DEP_1)
	v_add_co_ci_u32_e64 v29, s0, 0, v35, s0
	ds_load_2addr_b64 v[24:27], v36 offset1:1
	v_add_co_u32 v20, s0, v38, v20
	v_lshlrev_b64 v[30:31], 3, v[28:29]
	v_lshlrev_b64 v[28:29], 4, v[28:29]
	v_add_co_ci_u32_e64 v21, s0, v39, v21, s0
	s_delay_alu instid0(VALU_DEP_3) | instskip(NEXT) | instid1(VALU_DEP_1)
	v_add_co_u32 v30, s0, s3, v30
	v_add_co_ci_u32_e64 v31, s0, s8, v31, s0
	s_delay_alu instid0(VALU_DEP_4) | instskip(NEXT) | instid1(VALU_DEP_1)
	v_add_co_u32 v28, s0, s9, v28
	v_add_co_ci_u32_e64 v29, s0, s14, v29, s0
	global_store_b64 v[30:31], v[20:21], off
	s_waitcnt lgkmcnt(0)
	global_store_b128 v[28:29], v[24:27], off
	s_branch .LBB22_12
.LBB22_35:
	s_nop 0
	s_sendmsg sendmsg(MSG_DEALLOC_VGPRS)
	s_endpgm
	.section	.rodata,"a",@progbits
	.p2align	6, 0x0
	.amdhsa_kernel _ZN9rocsparseL29csrgeam_fill_multipass_kernelILj256ELj32Ell21rocsparse_complex_numIdEEEvllNS_24const_host_device_scalarIT3_EEPKT1_PKT2_PKS4_S5_S8_SB_SD_S8_PS9_PS4_21rocsparse_index_base_SG_SG_bbb
		.amdhsa_group_segment_fixed_size 8448
		.amdhsa_private_segment_fixed_size 0
		.amdhsa_kernarg_size 136
		.amdhsa_user_sgpr_count 15
		.amdhsa_user_sgpr_dispatch_ptr 1
		.amdhsa_user_sgpr_queue_ptr 0
		.amdhsa_user_sgpr_kernarg_segment_ptr 1
		.amdhsa_user_sgpr_dispatch_id 0
		.amdhsa_user_sgpr_private_segment_size 0
		.amdhsa_wavefront_size32 1
		.amdhsa_uses_dynamic_stack 0
		.amdhsa_enable_private_segment 0
		.amdhsa_system_sgpr_workgroup_id_x 1
		.amdhsa_system_sgpr_workgroup_id_y 0
		.amdhsa_system_sgpr_workgroup_id_z 0
		.amdhsa_system_sgpr_workgroup_info 0
		.amdhsa_system_vgpr_workitem_id 2
		.amdhsa_next_free_vgpr 55
		.amdhsa_next_free_sgpr 28
		.amdhsa_reserve_vcc 1
		.amdhsa_float_round_mode_32 0
		.amdhsa_float_round_mode_16_64 0
		.amdhsa_float_denorm_mode_32 3
		.amdhsa_float_denorm_mode_16_64 3
		.amdhsa_dx10_clamp 1
		.amdhsa_ieee_mode 1
		.amdhsa_fp16_overflow 0
		.amdhsa_workgroup_processor_mode 1
		.amdhsa_memory_ordered 1
		.amdhsa_forward_progress 0
		.amdhsa_shared_vgpr_count 0
		.amdhsa_exception_fp_ieee_invalid_op 0
		.amdhsa_exception_fp_denorm_src 0
		.amdhsa_exception_fp_ieee_div_zero 0
		.amdhsa_exception_fp_ieee_overflow 0
		.amdhsa_exception_fp_ieee_underflow 0
		.amdhsa_exception_fp_ieee_inexact 0
		.amdhsa_exception_int_div_zero 0
	.end_amdhsa_kernel
	.section	.text._ZN9rocsparseL29csrgeam_fill_multipass_kernelILj256ELj32Ell21rocsparse_complex_numIdEEEvllNS_24const_host_device_scalarIT3_EEPKT1_PKT2_PKS4_S5_S8_SB_SD_S8_PS9_PS4_21rocsparse_index_base_SG_SG_bbb,"axG",@progbits,_ZN9rocsparseL29csrgeam_fill_multipass_kernelILj256ELj32Ell21rocsparse_complex_numIdEEEvllNS_24const_host_device_scalarIT3_EEPKT1_PKT2_PKS4_S5_S8_SB_SD_S8_PS9_PS4_21rocsparse_index_base_SG_SG_bbb,comdat
.Lfunc_end22:
	.size	_ZN9rocsparseL29csrgeam_fill_multipass_kernelILj256ELj32Ell21rocsparse_complex_numIdEEEvllNS_24const_host_device_scalarIT3_EEPKT1_PKT2_PKS4_S5_S8_SB_SD_S8_PS9_PS4_21rocsparse_index_base_SG_SG_bbb, .Lfunc_end22-_ZN9rocsparseL29csrgeam_fill_multipass_kernelILj256ELj32Ell21rocsparse_complex_numIdEEEvllNS_24const_host_device_scalarIT3_EEPKT1_PKT2_PKS4_S5_S8_SB_SD_S8_PS9_PS4_21rocsparse_index_base_SG_SG_bbb
                                        ; -- End function
	.section	.AMDGPU.csdata,"",@progbits
; Kernel info:
; codeLenInByte = 2340
; NumSgprs: 30
; NumVgprs: 55
; ScratchSize: 0
; MemoryBound: 0
; FloatMode: 240
; IeeeMode: 1
; LDSByteSize: 8448 bytes/workgroup (compile time only)
; SGPRBlocks: 3
; VGPRBlocks: 6
; NumSGPRsForWavesPerEU: 30
; NumVGPRsForWavesPerEU: 55
; Occupancy: 16
; WaveLimiterHint : 1
; COMPUTE_PGM_RSRC2:SCRATCH_EN: 0
; COMPUTE_PGM_RSRC2:USER_SGPR: 15
; COMPUTE_PGM_RSRC2:TRAP_HANDLER: 0
; COMPUTE_PGM_RSRC2:TGID_X_EN: 1
; COMPUTE_PGM_RSRC2:TGID_Y_EN: 0
; COMPUTE_PGM_RSRC2:TGID_Z_EN: 0
; COMPUTE_PGM_RSRC2:TIDIG_COMP_CNT: 2
	.section	.text._ZN9rocsparseL29csrgeam_fill_multipass_kernelILj256ELj64Ell21rocsparse_complex_numIdEEEvllNS_24const_host_device_scalarIT3_EEPKT1_PKT2_PKS4_S5_S8_SB_SD_S8_PS9_PS4_21rocsparse_index_base_SG_SG_bbb,"axG",@progbits,_ZN9rocsparseL29csrgeam_fill_multipass_kernelILj256ELj64Ell21rocsparse_complex_numIdEEEvllNS_24const_host_device_scalarIT3_EEPKT1_PKT2_PKS4_S5_S8_SB_SD_S8_PS9_PS4_21rocsparse_index_base_SG_SG_bbb,comdat
	.globl	_ZN9rocsparseL29csrgeam_fill_multipass_kernelILj256ELj64Ell21rocsparse_complex_numIdEEEvllNS_24const_host_device_scalarIT3_EEPKT1_PKT2_PKS4_S5_S8_SB_SD_S8_PS9_PS4_21rocsparse_index_base_SG_SG_bbb ; -- Begin function _ZN9rocsparseL29csrgeam_fill_multipass_kernelILj256ELj64Ell21rocsparse_complex_numIdEEEvllNS_24const_host_device_scalarIT3_EEPKT1_PKT2_PKS4_S5_S8_SB_SD_S8_PS9_PS4_21rocsparse_index_base_SG_SG_bbb
	.p2align	8
	.type	_ZN9rocsparseL29csrgeam_fill_multipass_kernelILj256ELj64Ell21rocsparse_complex_numIdEEEvllNS_24const_host_device_scalarIT3_EEPKT1_PKT2_PKS4_S5_S8_SB_SD_S8_PS9_PS4_21rocsparse_index_base_SG_SG_bbb,@function
_ZN9rocsparseL29csrgeam_fill_multipass_kernelILj256ELj64Ell21rocsparse_complex_numIdEEEvllNS_24const_host_device_scalarIT3_EEPKT1_PKT2_PKS4_S5_S8_SB_SD_S8_PS9_PS4_21rocsparse_index_base_SG_SG_bbb: ; @_ZN9rocsparseL29csrgeam_fill_multipass_kernelILj256ELj64Ell21rocsparse_complex_numIdEEEvllNS_24const_host_device_scalarIT3_EEPKT1_PKT2_PKS4_S5_S8_SB_SD_S8_PS9_PS4_21rocsparse_index_base_SG_SG_bbb
; %bb.0:
	s_load_b32 s12, s[2:3], 0x84
	s_load_b64 s[24:25], s[0:1], 0x4
	s_load_b256 s[4:11], s[2:3], 0x0
	v_and_b32_e32 v24, 0x3ff, v0
	s_clause 0x1
	s_load_b128 s[20:23], s[2:3], 0x38
	s_load_b128 s[16:19], s[2:3], 0x78
	v_mov_b32_e32 v8, 0
	v_mov_b32_e32 v9, 0
	v_bfe_u32 v2, v0, 10, 10
	v_bfe_u32 v0, v0, 20, 10
	s_delay_alu instid0(VALU_DEP_3)
	v_dual_mov_b32 v11, v9 :: v_dual_mov_b32 v10, v8
	v_dual_mov_b32 v13, v9 :: v_dual_mov_b32 v12, v8
	s_waitcnt lgkmcnt(0)
	s_bitcmp1_b32 s12, 16
	s_cselect_b32 s0, -1, 0
	s_lshr_b32 s1, s24, 16
	v_mov_b32_e32 v3, s20
	s_mul_i32 s1, s1, s25
	s_delay_alu instid0(SALU_CYCLE_1) | instskip(SKIP_3) | instid1(VALU_DEP_2)
	v_mul_lo_u32 v1, s1, v24
	s_xor_b32 s1, s0, -1
	s_bitcmp0_b32 s19, 0
	v_cndmask_b32_e64 v5, 0, 1, s1
	v_mad_u32_u24 v1, v2, s25, v1
	s_delay_alu instid0(VALU_DEP_2) | instskip(NEXT) | instid1(VALU_DEP_2)
	v_cmp_ne_u32_e32 vcc_lo, 1, v5
	v_add_lshl_u32 v0, v1, v0, 3
	v_dual_mov_b32 v1, s8 :: v_dual_mov_b32 v2, s9
	s_delay_alu instid0(VALU_DEP_2)
	v_dual_mov_b32 v4, s21 :: v_dual_add_nc_u32 v5, 0x100, v0
	ds_store_2addr_stride64_b64 v5, v[3:4], v[1:2] offset0:8 offset1:12
	s_cbranch_scc1 .LBB23_3
; %bb.1:
	s_mov_b64 s[24:25], src_shared_base
	s_and_b32 s13, s0, exec_lo
	s_cselect_b32 s13, s25, s9
	s_delay_alu instid0(SALU_CYCLE_1) | instskip(SKIP_2) | instid1(VALU_DEP_2)
	v_dual_mov_b32 v2, s13 :: v_dual_add_nc_u32 v1, 0x1900, v0
	v_dual_mov_b32 v13, s11 :: v_dual_mov_b32 v12, s10
	s_and_b32 vcc_lo, exec_lo, vcc_lo
	v_cndmask_b32_e64 v1, s8, v1, s0
	flat_load_b64 v[10:11], v[1:2]
	s_cbranch_vccnz .LBB23_3
; %bb.2:
	v_dual_mov_b32 v1, s8 :: v_dual_mov_b32 v2, s9
	flat_load_b64 v[12:13], v[1:2] offset:8
.LBB23_3:
	v_dual_mov_b32 v15, v9 :: v_dual_mov_b32 v14, v8
	s_bfe_u32 s8, s12, 0x10008
	s_delay_alu instid0(SALU_CYCLE_1)
	s_cmp_eq_u32 s8, 0
	s_cbranch_scc1 .LBB23_6
; %bb.4:
	s_mov_b64 s[8:9], src_shared_base
	s_and_b32 s8, s0, exec_lo
	s_cselect_b32 s8, s9, s21
	s_delay_alu instid0(SALU_CYCLE_1) | instskip(SKIP_2) | instid1(VALU_DEP_2)
	v_dual_mov_b32 v1, s8 :: v_dual_add_nc_u32 v0, 0x1100, v0
	v_dual_mov_b32 v8, s22 :: v_dual_mov_b32 v9, s23
	s_and_not1_b32 vcc_lo, exec_lo, s1
	v_cndmask_b32_e64 v0, s20, v0, s0
	flat_load_b64 v[14:15], v[0:1]
	s_cbranch_vccnz .LBB23_6
; %bb.5:
	v_dual_mov_b32 v0, s20 :: v_dual_mov_b32 v1, s21
	flat_load_b64 v[8:9], v[0:1] offset:8
.LBB23_6:
	v_lshrrev_b32_e32 v0, 6, v24
	s_lshl_b32 s0, s15, 2
	v_mov_b32_e32 v1, 0
	s_delay_alu instid0(VALU_DEP_2) | instskip(SKIP_1) | instid1(VALU_DEP_1)
	v_and_or_b32 v0, 0x3fffffc, s0, v0
	s_mov_b32 s0, exec_lo
	v_cmpx_gt_i64_e64 s[4:5], v[0:1]
	s_cbranch_execz .LBB23_35
; %bb.7:
	s_clause 0x1
	s_load_b128 s[20:23], s[2:3], 0x20
	s_load_b256 s[8:15], s[2:3], 0x48
	v_lshlrev_b32_e32 v16, 3, v0
	s_clause 0x1
	s_load_b64 s[4:5], s[2:3], 0x30
	s_load_b128 s[24:27], s[2:3], 0x68
	s_waitcnt lgkmcnt(0)
	s_clause 0x2
	global_load_b128 v[0:3], v16, s[20:21]
	global_load_b128 v[4:7], v16, s[8:9]
	global_load_b64 v[18:19], v16, s[14:15]
	s_waitcnt vmcnt(2)
	v_sub_co_u32 v16, vcc_lo, v0, s16
	v_subrev_co_ci_u32_e32 v17, vcc_lo, 0, v1, vcc_lo
	v_cmp_lt_i64_e32 vcc_lo, v[0:1], v[2:3]
	v_dual_mov_b32 v0, s6 :: v_dual_mov_b32 v1, s7
	s_and_saveexec_b32 s0, vcc_lo
	s_cbranch_execz .LBB23_9
; %bb.8:
	v_lshlrev_b64 v[0:1], 3, v[16:17]
	s_delay_alu instid0(VALU_DEP_1) | instskip(NEXT) | instid1(VALU_DEP_2)
	v_add_co_u32 v0, vcc_lo, s22, v0
	v_add_co_ci_u32_e32 v1, vcc_lo, s23, v1, vcc_lo
	global_load_b64 v[0:1], v[0:1], off
	s_waitcnt vmcnt(0)
	v_sub_co_u32 v0, vcc_lo, v0, s16
	v_subrev_co_ci_u32_e32 v1, vcc_lo, 0, v1, vcc_lo
.LBB23_9:
	s_or_b32 exec_lo, exec_lo, s0
	s_waitcnt vmcnt(1)
	v_sub_co_u32 v20, vcc_lo, v4, s17
	v_subrev_co_ci_u32_e32 v21, vcc_lo, 0, v5, vcc_lo
	v_dual_mov_b32 v23, s7 :: v_dual_mov_b32 v22, s6
	s_mov_b32 s1, s17
	s_mov_b32 s0, exec_lo
	v_cmpx_lt_i64_e64 v[4:5], v[6:7]
	s_cbranch_execz .LBB23_11
; %bb.10:
	v_lshlrev_b64 v[4:5], 3, v[20:21]
	s_delay_alu instid0(VALU_DEP_1) | instskip(NEXT) | instid1(VALU_DEP_2)
	v_add_co_u32 v4, vcc_lo, s10, v4
	v_add_co_ci_u32_e32 v5, vcc_lo, s11, v5, vcc_lo
	global_load_b64 v[4:5], v[4:5], off
	s_waitcnt vmcnt(0)
	v_sub_co_u32 v22, vcc_lo, v4, s1
	v_subrev_co_ci_u32_e32 v23, vcc_lo, 0, v5, vcc_lo
.LBB23_11:
	s_or_b32 exec_lo, exec_lo, s0
	v_and_b32_e32 v4, 0xc0, v24
	s_waitcnt vmcnt(0)
	v_sub_co_u32 v36, s0, v18, s18
	s_delay_alu instid0(VALU_DEP_1) | instskip(NEXT) | instid1(VALU_DEP_3)
	v_subrev_co_ci_u32_e64 v37, s0, 0, v19, s0
	v_or_b32_e32 v34, 0x1000, v4
	v_lshlrev_b32_e32 v35, 4, v4
	v_sub_co_u32 v4, vcc_lo, v2, s16
	v_subrev_co_ci_u32_e32 v5, vcc_lo, 0, v3, vcc_lo
	v_sub_co_u32 v6, vcc_lo, v6, s1
	v_subrev_co_ci_u32_e32 v7, vcc_lo, 0, v7, vcc_lo
	v_cmp_lt_i64_e32 vcc_lo, v[22:23], v[0:1]
	s_add_u32 s3, s24, -8
	s_addc_u32 s8, s25, -1
	s_add_u32 s9, s26, -16
	s_addc_u32 s14, s27, -1
	s_add_u32 s4, s4, 8
	v_dual_cndmask_b32 v22, v0, v22 :: v_dual_cndmask_b32 v23, v1, v23
	v_mbcnt_lo_u32_b32 v1, -1, 0
	v_dual_mov_b32 v47, 1 :: v_dual_and_b32 v2, 63, v24
	s_addc_u32 s5, s5, 0
	s_add_u32 s12, s12, 8
	s_delay_alu instid0(VALU_DEP_2) | instskip(NEXT) | instid1(VALU_DEP_2)
	v_or_b32_e32 v24, 32, v1
	v_add_co_u32 v16, vcc_lo, v16, v2
	v_add_co_ci_u32_e32 v17, vcc_lo, 0, v17, vcc_lo
	v_add_co_u32 v18, vcc_lo, v20, v2
	v_add_co_ci_u32_e32 v19, vcc_lo, 0, v21, vcc_lo
	v_xor_b32_e32 v3, 63, v2
	v_cmp_gt_i32_e32 vcc_lo, 32, v24
	v_mov_b32_e32 v0, 0
	v_xor_b32_e32 v25, 4, v1
	v_xor_b32_e32 v26, 2, v1
	v_lshrrev_b64 v[20:21], v3, -1
	v_cndmask_b32_e32 v3, v1, v24, vcc_lo
	v_xor_b32_e32 v24, 16, v1
	v_xor_b32_e32 v27, 1, v1
	s_mov_b32 s2, 0
	s_addc_u32 s13, s13, 0
	v_lshlrev_b32_e32 v40, 2, v3
	v_xor_b32_e32 v3, 8, v1
	v_cmp_gt_i32_e32 vcc_lo, 32, v24
	v_cndmask_b32_e32 v24, v1, v24, vcc_lo
	s_delay_alu instid0(VALU_DEP_3)
	v_cmp_gt_i32_e32 vcc_lo, 32, v3
	v_cndmask_b32_e32 v3, v1, v3, vcc_lo
	v_cmp_gt_i32_e32 vcc_lo, 32, v25
	v_add_co_u32 v21, s0, s18, v2
	v_lshl_or_b32 v38, v2, 4, v35
	v_add_co_ci_u32_e64 v39, null, 0, 0, s0
	v_cndmask_b32_e32 v25, v1, v25, vcc_lo
	v_cmp_gt_i32_e32 vcc_lo, 32, v26
	v_lshlrev_b32_e32 v42, 2, v3
	v_dual_mov_b32 v3, v0 :: v_dual_add_nc_u32 v46, v34, v2
	s_delay_alu instid0(VALU_DEP_4) | instskip(SKIP_3) | instid1(VALU_DEP_4)
	v_dual_cndmask_b32 v26, v1, v26 :: v_dual_lshlrev_b32 v43, 2, v25
	v_lshlrev_b32_e32 v41, 2, v24
	v_cmp_gt_i32_e32 vcc_lo, 32, v27
	v_mov_b32_e32 v2, v0
	v_dual_cndmask_b32 v1, v1, v27 :: v_dual_lshlrev_b32 v44, 2, v26
	s_delay_alu instid0(VALU_DEP_1)
	v_lshlrev_b32_e32 v45, 2, v1
	v_mov_b32_e32 v1, v0
	s_branch .LBB23_13
.LBB23_12:                              ;   in Loop: Header=BB23_13 Depth=1
	s_or_b32 exec_lo, exec_lo, s15
	ds_bpermute_b32 v22, v40, v24
	ds_bpermute_b32 v23, v40, v25
	s_waitcnt lgkmcnt(0)
	v_cmp_lt_i64_e64 s0, v[22:23], v[24:25]
	s_delay_alu instid0(VALU_DEP_1)
	v_cndmask_b32_e64 v23, v25, v23, s0
	v_cndmask_b32_e64 v22, v24, v22, s0
	ds_bpermute_b32 v25, v41, v23
	ds_bpermute_b32 v24, v41, v22
	s_waitcnt lgkmcnt(0)
	v_cmp_lt_i64_e64 s0, v[24:25], v[22:23]
	s_delay_alu instid0(VALU_DEP_1)
	v_cndmask_b32_e64 v23, v23, v25, s0
	v_cndmask_b32_e64 v22, v22, v24, s0
	;; [unrolled: 7-line block ×5, first 2 shown]
	ds_bpermute_b32 v25, v45, v23
	ds_bpermute_b32 v24, v45, v22
	s_waitcnt lgkmcnt(0)
	v_cmp_lt_i64_e64 s0, v[24:25], v[22:23]
	s_delay_alu instid0(VALU_DEP_1) | instskip(SKIP_2) | instid1(SALU_CYCLE_1)
	v_cndmask_b32_e64 v23, v23, v25, s0
	v_cndmask_b32_e64 v22, v22, v24, s0
	s_bcnt1_i32_b32 s0, vcc_lo
	v_add_co_u32 v36, s0, s0, v36
	s_delay_alu instid0(VALU_DEP_2) | instskip(SKIP_2) | instid1(SALU_CYCLE_1)
	v_cmp_le_i64_e32 vcc_lo, s[6:7], v[22:23]
	v_add_co_ci_u32_e64 v37, s0, 0, v37, s0
	s_or_b32 s2, vcc_lo, s2
	s_and_not1_b32 exec_lo, exec_lo, s2
	s_cbranch_execz .LBB23_35
.LBB23_13:                              ; =>This Loop Header: Depth=1
                                        ;     Child Loop BB23_16 Depth 2
                                        ;     Child Loop BB23_26 Depth 2
	v_dual_mov_b32 v25, s7 :: v_dual_mov_b32 v24, s6
	s_mov_b32 s15, exec_lo
	ds_store_b8 v46, v0
	ds_store_b128 v38, v[0:3]
	s_waitcnt lgkmcnt(0)
	buffer_gl0_inv
	v_cmpx_lt_i64_e64 v[16:17], v[4:5]
	s_cbranch_execz .LBB23_23
; %bb.14:                               ;   in Loop: Header=BB23_13 Depth=1
	v_lshlrev_b64 v[24:25], 3, v[16:17]
	v_lshlrev_b64 v[28:29], 4, v[16:17]
	s_mov_b32 s17, 0
	s_delay_alu instid0(VALU_DEP_2) | instskip(NEXT) | instid1(VALU_DEP_3)
	v_add_co_u32 v26, vcc_lo, s22, v24
	v_add_co_ci_u32_e32 v27, vcc_lo, s23, v25, vcc_lo
	s_delay_alu instid0(VALU_DEP_3) | instskip(NEXT) | instid1(VALU_DEP_4)
	v_add_co_u32 v28, vcc_lo, s4, v28
	v_add_co_ci_u32_e32 v29, vcc_lo, s5, v29, vcc_lo
	v_dual_mov_b32 v25, s7 :: v_dual_mov_b32 v24, s6
	s_branch .LBB23_16
.LBB23_15:                              ;   in Loop: Header=BB23_16 Depth=2
	s_or_b32 exec_lo, exec_lo, s18
	s_delay_alu instid0(SALU_CYCLE_1) | instskip(NEXT) | instid1(SALU_CYCLE_1)
	s_and_b32 s0, exec_lo, s0
	s_or_b32 s17, s0, s17
	s_delay_alu instid0(SALU_CYCLE_1)
	s_and_not1_b32 exec_lo, exec_lo, s17
	s_cbranch_execz .LBB23_22
.LBB23_16:                              ;   Parent Loop BB23_13 Depth=1
                                        ; =>  This Inner Loop Header: Depth=2
	global_load_b64 v[30:31], v[26:27], off
	s_mov_b32 s18, exec_lo
	s_waitcnt vmcnt(0)
	v_sub_co_u32 v32, vcc_lo, v30, s16
	v_subrev_co_ci_u32_e32 v33, vcc_lo, 0, v31, vcc_lo
	s_delay_alu instid0(VALU_DEP_2) | instskip(NEXT) | instid1(VALU_DEP_2)
	v_sub_co_u32 v30, vcc_lo, v32, v22
	v_sub_co_ci_u32_e32 v31, vcc_lo, v33, v23, vcc_lo
	s_delay_alu instid0(VALU_DEP_1)
	v_cmp_gt_i64_e32 vcc_lo, 64, v[30:31]
	v_cmpx_lt_i64_e32 63, v[30:31]
	s_xor_b32 s18, exec_lo, s18
	s_cbranch_execnz .LBB23_19
; %bb.17:                               ;   in Loop: Header=BB23_16 Depth=2
	s_and_not1_saveexec_b32 s0, s18
	s_cbranch_execnz .LBB23_20
.LBB23_18:                              ;   in Loop: Header=BB23_16 Depth=2
	s_or_b32 exec_lo, exec_lo, s0
	s_mov_b32 s0, -1
	s_and_saveexec_b32 s18, vcc_lo
	s_cbranch_execz .LBB23_15
	s_branch .LBB23_21
.LBB23_19:                              ;   in Loop: Header=BB23_16 Depth=2
	v_cmp_lt_i64_e64 s0, v[32:33], v[24:25]
                                        ; implicit-def: $vgpr30
	s_delay_alu instid0(VALU_DEP_1)
	v_cndmask_b32_e64 v25, v25, v33, s0
	v_cndmask_b32_e64 v24, v24, v32, s0
	s_and_not1_saveexec_b32 s0, s18
	s_cbranch_execz .LBB23_18
.LBB23_20:                              ;   in Loop: Header=BB23_16 Depth=2
	global_load_b128 v[48:51], v[28:29], off offset:-8
	s_waitcnt vmcnt(0)
	v_mul_f64 v[31:32], v[50:51], -v[12:13]
	v_mul_f64 v[52:53], v[10:11], v[50:51]
	s_delay_alu instid0(VALU_DEP_2) | instskip(NEXT) | instid1(VALU_DEP_2)
	v_fma_f64 v[50:51], v[10:11], v[48:49], v[31:32]
	v_fma_f64 v[52:53], v[12:13], v[48:49], v[52:53]
	v_add_nc_u32_e32 v31, v34, v30
	v_lshl_add_u32 v30, v30, 4, v35
	ds_store_b8 v31, v47
	ds_store_b128 v30, v[50:53]
	s_or_b32 exec_lo, exec_lo, s0
	s_mov_b32 s0, -1
	s_and_saveexec_b32 s18, vcc_lo
	s_cbranch_execz .LBB23_15
.LBB23_21:                              ;   in Loop: Header=BB23_16 Depth=2
	v_add_co_u32 v16, vcc_lo, v16, 64
	v_add_co_ci_u32_e32 v17, vcc_lo, 0, v17, vcc_lo
	v_add_co_u32 v26, vcc_lo, 0x200, v26
	v_add_co_ci_u32_e32 v27, vcc_lo, 0, v27, vcc_lo
	s_delay_alu instid0(VALU_DEP_3) | instskip(SKIP_1) | instid1(VALU_DEP_1)
	v_cmp_ge_i64_e32 vcc_lo, v[16:17], v[4:5]
	v_add_co_u32 v28, s0, 0x400, v28
	v_add_co_ci_u32_e64 v29, s0, 0, v29, s0
	s_or_not1_b32 s0, vcc_lo, exec_lo
	s_branch .LBB23_15
.LBB23_22:                              ;   in Loop: Header=BB23_13 Depth=1
	s_or_b32 exec_lo, exec_lo, s17
.LBB23_23:                              ;   in Loop: Header=BB23_13 Depth=1
	s_delay_alu instid0(SALU_CYCLE_1) | instskip(NEXT) | instid1(SALU_CYCLE_1)
	s_or_b32 exec_lo, exec_lo, s15
	s_mov_b32 s15, exec_lo
	s_waitcnt lgkmcnt(0)
	buffer_gl0_inv
	v_cmpx_lt_i64_e64 v[18:19], v[6:7]
	s_cbranch_execz .LBB23_33
; %bb.24:                               ;   in Loop: Header=BB23_13 Depth=1
	v_lshlrev_b64 v[26:27], 3, v[18:19]
	v_lshlrev_b64 v[28:29], 4, v[18:19]
	s_mov_b32 s17, 0
	s_delay_alu instid0(VALU_DEP_2) | instskip(NEXT) | instid1(VALU_DEP_3)
	v_add_co_u32 v26, vcc_lo, s10, v26
	v_add_co_ci_u32_e32 v27, vcc_lo, s11, v27, vcc_lo
	s_delay_alu instid0(VALU_DEP_3) | instskip(NEXT) | instid1(VALU_DEP_4)
	v_add_co_u32 v28, vcc_lo, s12, v28
	v_add_co_ci_u32_e32 v29, vcc_lo, s13, v29, vcc_lo
	s_branch .LBB23_26
.LBB23_25:                              ;   in Loop: Header=BB23_26 Depth=2
	s_or_b32 exec_lo, exec_lo, s18
	s_delay_alu instid0(SALU_CYCLE_1) | instskip(NEXT) | instid1(SALU_CYCLE_1)
	s_and_b32 s0, exec_lo, s0
	s_or_b32 s17, s0, s17
	s_delay_alu instid0(SALU_CYCLE_1)
	s_and_not1_b32 exec_lo, exec_lo, s17
	s_cbranch_execz .LBB23_32
.LBB23_26:                              ;   Parent Loop BB23_13 Depth=1
                                        ; =>  This Inner Loop Header: Depth=2
	global_load_b64 v[30:31], v[26:27], off
	s_mov_b32 s18, exec_lo
	s_waitcnt vmcnt(0)
	v_sub_co_u32 v32, vcc_lo, v30, s1
	v_subrev_co_ci_u32_e32 v33, vcc_lo, 0, v31, vcc_lo
	s_delay_alu instid0(VALU_DEP_2) | instskip(NEXT) | instid1(VALU_DEP_2)
	v_sub_co_u32 v30, vcc_lo, v32, v22
	v_sub_co_ci_u32_e32 v31, vcc_lo, v33, v23, vcc_lo
	s_delay_alu instid0(VALU_DEP_1)
	v_cmp_gt_i64_e32 vcc_lo, 64, v[30:31]
	v_cmpx_lt_i64_e32 63, v[30:31]
	s_xor_b32 s18, exec_lo, s18
	s_cbranch_execnz .LBB23_29
; %bb.27:                               ;   in Loop: Header=BB23_26 Depth=2
	s_and_not1_saveexec_b32 s0, s18
	s_cbranch_execnz .LBB23_30
.LBB23_28:                              ;   in Loop: Header=BB23_26 Depth=2
	s_or_b32 exec_lo, exec_lo, s0
	s_mov_b32 s0, -1
	s_and_saveexec_b32 s18, vcc_lo
	s_cbranch_execz .LBB23_25
	s_branch .LBB23_31
.LBB23_29:                              ;   in Loop: Header=BB23_26 Depth=2
	v_cmp_lt_i64_e64 s0, v[32:33], v[24:25]
                                        ; implicit-def: $vgpr30
	s_delay_alu instid0(VALU_DEP_1)
	v_cndmask_b32_e64 v25, v25, v33, s0
	v_cndmask_b32_e64 v24, v24, v32, s0
	s_and_not1_saveexec_b32 s0, s18
	s_cbranch_execz .LBB23_28
.LBB23_30:                              ;   in Loop: Header=BB23_26 Depth=2
	global_load_b128 v[48:51], v[28:29], off offset:-8
	v_lshl_add_u32 v33, v30, 4, v35
	v_add_nc_u32_e32 v30, v34, v30
	ds_load_b128 v[52:55], v33
	s_waitcnt vmcnt(0) lgkmcnt(0)
	v_fma_f64 v[31:32], v[14:15], v[48:49], v[52:53]
	v_fma_f64 v[52:53], v[8:9], v[48:49], v[54:55]
	s_delay_alu instid0(VALU_DEP_2) | instskip(NEXT) | instid1(VALU_DEP_2)
	v_fma_f64 v[48:49], -v[8:9], v[50:51], v[31:32]
	v_fma_f64 v[50:51], v[14:15], v[50:51], v[52:53]
	ds_store_b8 v30, v47
	ds_store_b128 v33, v[48:51]
	s_or_b32 exec_lo, exec_lo, s0
	s_mov_b32 s0, -1
	s_and_saveexec_b32 s18, vcc_lo
	s_cbranch_execz .LBB23_25
.LBB23_31:                              ;   in Loop: Header=BB23_26 Depth=2
	v_add_co_u32 v18, vcc_lo, v18, 64
	v_add_co_ci_u32_e32 v19, vcc_lo, 0, v19, vcc_lo
	v_add_co_u32 v26, vcc_lo, 0x200, v26
	v_add_co_ci_u32_e32 v27, vcc_lo, 0, v27, vcc_lo
	s_delay_alu instid0(VALU_DEP_3) | instskip(SKIP_1) | instid1(VALU_DEP_1)
	v_cmp_ge_i64_e32 vcc_lo, v[18:19], v[6:7]
	v_add_co_u32 v28, s0, 0x400, v28
	v_add_co_ci_u32_e64 v29, s0, 0, v29, s0
	s_or_not1_b32 s0, vcc_lo, exec_lo
	s_branch .LBB23_25
.LBB23_32:                              ;   in Loop: Header=BB23_13 Depth=1
	s_or_b32 exec_lo, exec_lo, s17
.LBB23_33:                              ;   in Loop: Header=BB23_13 Depth=1
	s_delay_alu instid0(SALU_CYCLE_1)
	s_or_b32 exec_lo, exec_lo, s15
	s_waitcnt lgkmcnt(0)
	buffer_gl0_inv
	ds_load_u8 v26, v46
	s_mov_b32 s15, exec_lo
	s_waitcnt lgkmcnt(0)
	v_and_b32_e32 v27, 1, v26
	v_cmp_ne_u16_e32 vcc_lo, 0, v26
	s_delay_alu instid0(VALU_DEP_2)
	v_cmpx_eq_u32_e32 1, v27
	s_cbranch_execz .LBB23_12
; %bb.34:                               ;   in Loop: Header=BB23_13 Depth=1
	v_and_b32_e32 v26, vcc_lo, v20
	s_delay_alu instid0(VALU_DEP_1) | instskip(NEXT) | instid1(VALU_DEP_1)
	v_bcnt_u32_b32 v26, v26, 0
	v_add_co_u32 v30, s0, v36, v26
	s_delay_alu instid0(VALU_DEP_1)
	v_add_co_ci_u32_e64 v31, s0, 0, v37, s0
	ds_load_2addr_b64 v[26:29], v38 offset1:1
	v_add_co_u32 v22, s0, v21, v22
	v_lshlrev_b64 v[32:33], 3, v[30:31]
	v_lshlrev_b64 v[30:31], 4, v[30:31]
	v_add_co_ci_u32_e64 v23, s0, v39, v23, s0
	s_delay_alu instid0(VALU_DEP_3) | instskip(NEXT) | instid1(VALU_DEP_1)
	v_add_co_u32 v32, s0, s3, v32
	v_add_co_ci_u32_e64 v33, s0, s8, v33, s0
	s_delay_alu instid0(VALU_DEP_4) | instskip(NEXT) | instid1(VALU_DEP_1)
	v_add_co_u32 v30, s0, s9, v30
	v_add_co_ci_u32_e64 v31, s0, s14, v31, s0
	global_store_b64 v[32:33], v[22:23], off
	s_waitcnt lgkmcnt(0)
	global_store_b128 v[30:31], v[26:29], off
	s_branch .LBB23_12
.LBB23_35:
	s_nop 0
	s_sendmsg sendmsg(MSG_DEALLOC_VGPRS)
	s_endpgm
	.section	.rodata,"a",@progbits
	.p2align	6, 0x0
	.amdhsa_kernel _ZN9rocsparseL29csrgeam_fill_multipass_kernelILj256ELj64Ell21rocsparse_complex_numIdEEEvllNS_24const_host_device_scalarIT3_EEPKT1_PKT2_PKS4_S5_S8_SB_SD_S8_PS9_PS4_21rocsparse_index_base_SG_SG_bbb
		.amdhsa_group_segment_fixed_size 8448
		.amdhsa_private_segment_fixed_size 0
		.amdhsa_kernarg_size 136
		.amdhsa_user_sgpr_count 15
		.amdhsa_user_sgpr_dispatch_ptr 1
		.amdhsa_user_sgpr_queue_ptr 0
		.amdhsa_user_sgpr_kernarg_segment_ptr 1
		.amdhsa_user_sgpr_dispatch_id 0
		.amdhsa_user_sgpr_private_segment_size 0
		.amdhsa_wavefront_size32 1
		.amdhsa_uses_dynamic_stack 0
		.amdhsa_enable_private_segment 0
		.amdhsa_system_sgpr_workgroup_id_x 1
		.amdhsa_system_sgpr_workgroup_id_y 0
		.amdhsa_system_sgpr_workgroup_id_z 0
		.amdhsa_system_sgpr_workgroup_info 0
		.amdhsa_system_vgpr_workitem_id 2
		.amdhsa_next_free_vgpr 56
		.amdhsa_next_free_sgpr 28
		.amdhsa_reserve_vcc 1
		.amdhsa_float_round_mode_32 0
		.amdhsa_float_round_mode_16_64 0
		.amdhsa_float_denorm_mode_32 3
		.amdhsa_float_denorm_mode_16_64 3
		.amdhsa_dx10_clamp 1
		.amdhsa_ieee_mode 1
		.amdhsa_fp16_overflow 0
		.amdhsa_workgroup_processor_mode 1
		.amdhsa_memory_ordered 1
		.amdhsa_forward_progress 0
		.amdhsa_shared_vgpr_count 0
		.amdhsa_exception_fp_ieee_invalid_op 0
		.amdhsa_exception_fp_denorm_src 0
		.amdhsa_exception_fp_ieee_div_zero 0
		.amdhsa_exception_fp_ieee_overflow 0
		.amdhsa_exception_fp_ieee_underflow 0
		.amdhsa_exception_fp_ieee_inexact 0
		.amdhsa_exception_int_div_zero 0
	.end_amdhsa_kernel
	.section	.text._ZN9rocsparseL29csrgeam_fill_multipass_kernelILj256ELj64Ell21rocsparse_complex_numIdEEEvllNS_24const_host_device_scalarIT3_EEPKT1_PKT2_PKS4_S5_S8_SB_SD_S8_PS9_PS4_21rocsparse_index_base_SG_SG_bbb,"axG",@progbits,_ZN9rocsparseL29csrgeam_fill_multipass_kernelILj256ELj64Ell21rocsparse_complex_numIdEEEvllNS_24const_host_device_scalarIT3_EEPKT1_PKT2_PKS4_S5_S8_SB_SD_S8_PS9_PS4_21rocsparse_index_base_SG_SG_bbb,comdat
.Lfunc_end23:
	.size	_ZN9rocsparseL29csrgeam_fill_multipass_kernelILj256ELj64Ell21rocsparse_complex_numIdEEEvllNS_24const_host_device_scalarIT3_EEPKT1_PKT2_PKS4_S5_S8_SB_SD_S8_PS9_PS4_21rocsparse_index_base_SG_SG_bbb, .Lfunc_end23-_ZN9rocsparseL29csrgeam_fill_multipass_kernelILj256ELj64Ell21rocsparse_complex_numIdEEEvllNS_24const_host_device_scalarIT3_EEPKT1_PKT2_PKS4_S5_S8_SB_SD_S8_PS9_PS4_21rocsparse_index_base_SG_SG_bbb
                                        ; -- End function
	.section	.AMDGPU.csdata,"",@progbits
; Kernel info:
; codeLenInByte = 2408
; NumSgprs: 30
; NumVgprs: 56
; ScratchSize: 0
; MemoryBound: 0
; FloatMode: 240
; IeeeMode: 1
; LDSByteSize: 8448 bytes/workgroup (compile time only)
; SGPRBlocks: 3
; VGPRBlocks: 6
; NumSGPRsForWavesPerEU: 30
; NumVGPRsForWavesPerEU: 56
; Occupancy: 16
; WaveLimiterHint : 1
; COMPUTE_PGM_RSRC2:SCRATCH_EN: 0
; COMPUTE_PGM_RSRC2:USER_SGPR: 15
; COMPUTE_PGM_RSRC2:TRAP_HANDLER: 0
; COMPUTE_PGM_RSRC2:TGID_X_EN: 1
; COMPUTE_PGM_RSRC2:TGID_Y_EN: 0
; COMPUTE_PGM_RSRC2:TGID_Z_EN: 0
; COMPUTE_PGM_RSRC2:TIDIG_COMP_CNT: 2
	.text
	.p2alignl 7, 3214868480
	.fill 96, 4, 3214868480
	.type	__hip_cuid_19429ab011c2eeb2,@object ; @__hip_cuid_19429ab011c2eeb2
	.section	.bss,"aw",@nobits
	.globl	__hip_cuid_19429ab011c2eeb2
__hip_cuid_19429ab011c2eeb2:
	.byte	0                               ; 0x0
	.size	__hip_cuid_19429ab011c2eeb2, 1

	.ident	"AMD clang version 19.0.0git (https://github.com/RadeonOpenCompute/llvm-project roc-6.4.0 25133 c7fe45cf4b819c5991fe208aaa96edf142730f1d)"
	.section	".note.GNU-stack","",@progbits
	.addrsig
	.addrsig_sym __hip_cuid_19429ab011c2eeb2
	.amdgpu_metadata
---
amdhsa.kernels:
  - .args:
      - .offset:         0
        .size:           8
        .value_kind:     by_value
      - .offset:         8
        .size:           8
        .value_kind:     by_value
      - .offset:         16
        .size:           8
        .value_kind:     by_value
      - .actual_access:  read_only
        .address_space:  global
        .offset:         24
        .size:           8
        .value_kind:     global_buffer
      - .actual_access:  read_only
        .address_space:  global
        .offset:         32
        .size:           8
        .value_kind:     global_buffer
      - .actual_access:  read_only
        .address_space:  global
        .offset:         40
        .size:           8
        .value_kind:     global_buffer
      - .offset:         48
        .size:           8
        .value_kind:     by_value
      - .actual_access:  read_only
        .address_space:  global
        .offset:         56
        .size:           8
        .value_kind:     global_buffer
      - .actual_access:  read_only
        .address_space:  global
        .offset:         64
        .size:           8
        .value_kind:     global_buffer
      - .actual_access:  read_only
        .address_space:  global
        .offset:         72
        .size:           8
        .value_kind:     global_buffer
      - .actual_access:  read_only
        .address_space:  global
        .offset:         80
        .size:           8
        .value_kind:     global_buffer
      - .actual_access:  write_only
        .address_space:  global
        .offset:         88
        .size:           8
        .value_kind:     global_buffer
      - .actual_access:  write_only
        .address_space:  global
        .offset:         96
        .size:           8
        .value_kind:     global_buffer
      - .offset:         104
        .size:           4
        .value_kind:     by_value
      - .offset:         108
        .size:           4
        .value_kind:     by_value
      - .offset:         112
        .size:           4
        .value_kind:     by_value
      - .offset:         116
        .size:           1
        .value_kind:     by_value
      - .offset:         117
        .size:           1
        .value_kind:     by_value
      - .offset:         118
        .size:           1
        .value_kind:     by_value
    .group_segment_fixed_size: 1280
    .kernarg_segment_align: 8
    .kernarg_segment_size: 120
    .language:       OpenCL C
    .language_version:
      - 2
      - 0
    .max_flat_workgroup_size: 256
    .name:           _ZN9rocsparseL29csrgeam_fill_multipass_kernelILj256ELj32EiifEEvllNS_24const_host_device_scalarIT3_EEPKT1_PKT2_PKS2_S3_S6_S9_SB_S6_PS7_PS2_21rocsparse_index_base_SE_SE_bbb
    .private_segment_fixed_size: 0
    .sgpr_count:     23
    .sgpr_spill_count: 0
    .symbol:         _ZN9rocsparseL29csrgeam_fill_multipass_kernelILj256ELj32EiifEEvllNS_24const_host_device_scalarIT3_EEPKT1_PKT2_PKS2_S3_S6_S9_SB_S6_PS7_PS2_21rocsparse_index_base_SE_SE_bbb.kd
    .uniform_work_group_size: 1
    .uses_dynamic_stack: false
    .vgpr_count:     30
    .vgpr_spill_count: 0
    .wavefront_size: 32
    .workgroup_processor_mode: 1
  - .args:
      - .offset:         0
        .size:           8
        .value_kind:     by_value
      - .offset:         8
        .size:           8
        .value_kind:     by_value
      - .offset:         16
        .size:           8
        .value_kind:     by_value
      - .actual_access:  read_only
        .address_space:  global
        .offset:         24
        .size:           8
        .value_kind:     global_buffer
      - .actual_access:  read_only
        .address_space:  global
        .offset:         32
        .size:           8
        .value_kind:     global_buffer
      - .actual_access:  read_only
        .address_space:  global
        .offset:         40
        .size:           8
        .value_kind:     global_buffer
      - .offset:         48
        .size:           8
        .value_kind:     by_value
      - .actual_access:  read_only
        .address_space:  global
        .offset:         56
        .size:           8
        .value_kind:     global_buffer
      - .actual_access:  read_only
        .address_space:  global
        .offset:         64
        .size:           8
        .value_kind:     global_buffer
      - .actual_access:  read_only
        .address_space:  global
        .offset:         72
        .size:           8
        .value_kind:     global_buffer
      - .actual_access:  read_only
        .address_space:  global
        .offset:         80
        .size:           8
        .value_kind:     global_buffer
      - .actual_access:  write_only
        .address_space:  global
        .offset:         88
        .size:           8
        .value_kind:     global_buffer
      - .actual_access:  write_only
        .address_space:  global
        .offset:         96
        .size:           8
        .value_kind:     global_buffer
      - .offset:         104
        .size:           4
        .value_kind:     by_value
      - .offset:         108
        .size:           4
        .value_kind:     by_value
      - .offset:         112
        .size:           4
        .value_kind:     by_value
      - .offset:         116
        .size:           1
        .value_kind:     by_value
      - .offset:         117
        .size:           1
        .value_kind:     by_value
      - .offset:         118
        .size:           1
        .value_kind:     by_value
    .group_segment_fixed_size: 1280
    .kernarg_segment_align: 8
    .kernarg_segment_size: 120
    .language:       OpenCL C
    .language_version:
      - 2
      - 0
    .max_flat_workgroup_size: 256
    .name:           _ZN9rocsparseL29csrgeam_fill_multipass_kernelILj256ELj64EiifEEvllNS_24const_host_device_scalarIT3_EEPKT1_PKT2_PKS2_S3_S6_S9_SB_S6_PS7_PS2_21rocsparse_index_base_SE_SE_bbb
    .private_segment_fixed_size: 0
    .sgpr_count:     23
    .sgpr_spill_count: 0
    .symbol:         _ZN9rocsparseL29csrgeam_fill_multipass_kernelILj256ELj64EiifEEvllNS_24const_host_device_scalarIT3_EEPKT1_PKT2_PKS2_S3_S6_S9_SB_S6_PS7_PS2_21rocsparse_index_base_SE_SE_bbb.kd
    .uniform_work_group_size: 1
    .uses_dynamic_stack: false
    .vgpr_count:     31
    .vgpr_spill_count: 0
    .wavefront_size: 32
    .workgroup_processor_mode: 1
  - .args:
      - .offset:         0
        .size:           8
        .value_kind:     by_value
      - .offset:         8
        .size:           8
        .value_kind:     by_value
      - .offset:         16
        .size:           8
        .value_kind:     by_value
      - .actual_access:  read_only
        .address_space:  global
        .offset:         24
        .size:           8
        .value_kind:     global_buffer
      - .actual_access:  read_only
        .address_space:  global
        .offset:         32
        .size:           8
        .value_kind:     global_buffer
      - .actual_access:  read_only
        .address_space:  global
        .offset:         40
        .size:           8
        .value_kind:     global_buffer
      - .offset:         48
        .size:           8
        .value_kind:     by_value
      - .actual_access:  read_only
        .address_space:  global
        .offset:         56
        .size:           8
        .value_kind:     global_buffer
      - .actual_access:  read_only
        .address_space:  global
        .offset:         64
        .size:           8
        .value_kind:     global_buffer
      - .actual_access:  read_only
        .address_space:  global
        .offset:         72
        .size:           8
        .value_kind:     global_buffer
      - .actual_access:  read_only
        .address_space:  global
        .offset:         80
        .size:           8
        .value_kind:     global_buffer
      - .actual_access:  write_only
        .address_space:  global
        .offset:         88
        .size:           8
        .value_kind:     global_buffer
      - .actual_access:  write_only
        .address_space:  global
        .offset:         96
        .size:           8
        .value_kind:     global_buffer
      - .offset:         104
        .size:           4
        .value_kind:     by_value
      - .offset:         108
        .size:           4
        .value_kind:     by_value
      - .offset:         112
        .size:           4
        .value_kind:     by_value
      - .offset:         116
        .size:           1
        .value_kind:     by_value
      - .offset:         117
        .size:           1
        .value_kind:     by_value
      - .offset:         118
        .size:           1
        .value_kind:     by_value
    .group_segment_fixed_size: 1280
    .kernarg_segment_align: 8
    .kernarg_segment_size: 120
    .language:       OpenCL C
    .language_version:
      - 2
      - 0
    .max_flat_workgroup_size: 256
    .name:           _ZN9rocsparseL29csrgeam_fill_multipass_kernelILj256ELj32ElifEEvllNS_24const_host_device_scalarIT3_EEPKT1_PKT2_PKS2_S3_S6_S9_SB_S6_PS7_PS2_21rocsparse_index_base_SE_SE_bbb
    .private_segment_fixed_size: 0
    .sgpr_count:     23
    .sgpr_spill_count: 0
    .symbol:         _ZN9rocsparseL29csrgeam_fill_multipass_kernelILj256ELj32ElifEEvllNS_24const_host_device_scalarIT3_EEPKT1_PKT2_PKS2_S3_S6_S9_SB_S6_PS7_PS2_21rocsparse_index_base_SE_SE_bbb.kd
    .uniform_work_group_size: 1
    .uses_dynamic_stack: false
    .vgpr_count:     36
    .vgpr_spill_count: 0
    .wavefront_size: 32
    .workgroup_processor_mode: 1
  - .args:
      - .offset:         0
        .size:           8
        .value_kind:     by_value
      - .offset:         8
        .size:           8
        .value_kind:     by_value
      - .offset:         16
        .size:           8
        .value_kind:     by_value
      - .actual_access:  read_only
        .address_space:  global
        .offset:         24
        .size:           8
        .value_kind:     global_buffer
      - .actual_access:  read_only
        .address_space:  global
        .offset:         32
        .size:           8
        .value_kind:     global_buffer
      - .actual_access:  read_only
        .address_space:  global
        .offset:         40
        .size:           8
        .value_kind:     global_buffer
      - .offset:         48
        .size:           8
        .value_kind:     by_value
      - .actual_access:  read_only
        .address_space:  global
        .offset:         56
        .size:           8
        .value_kind:     global_buffer
      - .actual_access:  read_only
        .address_space:  global
        .offset:         64
        .size:           8
        .value_kind:     global_buffer
      - .actual_access:  read_only
        .address_space:  global
        .offset:         72
        .size:           8
        .value_kind:     global_buffer
      - .actual_access:  read_only
        .address_space:  global
        .offset:         80
        .size:           8
        .value_kind:     global_buffer
      - .actual_access:  write_only
        .address_space:  global
        .offset:         88
        .size:           8
        .value_kind:     global_buffer
      - .actual_access:  write_only
        .address_space:  global
        .offset:         96
        .size:           8
        .value_kind:     global_buffer
      - .offset:         104
        .size:           4
        .value_kind:     by_value
      - .offset:         108
        .size:           4
        .value_kind:     by_value
      - .offset:         112
        .size:           4
        .value_kind:     by_value
      - .offset:         116
        .size:           1
        .value_kind:     by_value
      - .offset:         117
        .size:           1
        .value_kind:     by_value
      - .offset:         118
        .size:           1
        .value_kind:     by_value
    .group_segment_fixed_size: 1280
    .kernarg_segment_align: 8
    .kernarg_segment_size: 120
    .language:       OpenCL C
    .language_version:
      - 2
      - 0
    .max_flat_workgroup_size: 256
    .name:           _ZN9rocsparseL29csrgeam_fill_multipass_kernelILj256ELj64ElifEEvllNS_24const_host_device_scalarIT3_EEPKT1_PKT2_PKS2_S3_S6_S9_SB_S6_PS7_PS2_21rocsparse_index_base_SE_SE_bbb
    .private_segment_fixed_size: 0
    .sgpr_count:     23
    .sgpr_spill_count: 0
    .symbol:         _ZN9rocsparseL29csrgeam_fill_multipass_kernelILj256ELj64ElifEEvllNS_24const_host_device_scalarIT3_EEPKT1_PKT2_PKS2_S3_S6_S9_SB_S6_PS7_PS2_21rocsparse_index_base_SE_SE_bbb.kd
    .uniform_work_group_size: 1
    .uses_dynamic_stack: false
    .vgpr_count:     37
    .vgpr_spill_count: 0
    .wavefront_size: 32
    .workgroup_processor_mode: 1
  - .args:
      - .offset:         0
        .size:           8
        .value_kind:     by_value
      - .offset:         8
        .size:           8
        .value_kind:     by_value
      - .offset:         16
        .size:           8
        .value_kind:     by_value
      - .actual_access:  read_only
        .address_space:  global
        .offset:         24
        .size:           8
        .value_kind:     global_buffer
      - .actual_access:  read_only
        .address_space:  global
        .offset:         32
        .size:           8
        .value_kind:     global_buffer
      - .actual_access:  read_only
        .address_space:  global
        .offset:         40
        .size:           8
        .value_kind:     global_buffer
      - .offset:         48
        .size:           8
        .value_kind:     by_value
      - .actual_access:  read_only
        .address_space:  global
        .offset:         56
        .size:           8
        .value_kind:     global_buffer
      - .actual_access:  read_only
        .address_space:  global
        .offset:         64
        .size:           8
        .value_kind:     global_buffer
      - .actual_access:  read_only
        .address_space:  global
        .offset:         72
        .size:           8
        .value_kind:     global_buffer
      - .actual_access:  read_only
        .address_space:  global
        .offset:         80
        .size:           8
        .value_kind:     global_buffer
      - .actual_access:  write_only
        .address_space:  global
        .offset:         88
        .size:           8
        .value_kind:     global_buffer
      - .actual_access:  write_only
        .address_space:  global
        .offset:         96
        .size:           8
        .value_kind:     global_buffer
      - .offset:         104
        .size:           4
        .value_kind:     by_value
      - .offset:         108
        .size:           4
        .value_kind:     by_value
      - .offset:         112
        .size:           4
        .value_kind:     by_value
      - .offset:         116
        .size:           1
        .value_kind:     by_value
      - .offset:         117
        .size:           1
        .value_kind:     by_value
      - .offset:         118
        .size:           1
        .value_kind:     by_value
    .group_segment_fixed_size: 1280
    .kernarg_segment_align: 8
    .kernarg_segment_size: 120
    .language:       OpenCL C
    .language_version:
      - 2
      - 0
    .max_flat_workgroup_size: 256
    .name:           _ZN9rocsparseL29csrgeam_fill_multipass_kernelILj256ELj32EllfEEvllNS_24const_host_device_scalarIT3_EEPKT1_PKT2_PKS2_S3_S6_S9_SB_S6_PS7_PS2_21rocsparse_index_base_SE_SE_bbb
    .private_segment_fixed_size: 0
    .sgpr_count:     26
    .sgpr_spill_count: 0
    .symbol:         _ZN9rocsparseL29csrgeam_fill_multipass_kernelILj256ELj32EllfEEvllNS_24const_host_device_scalarIT3_EEPKT1_PKT2_PKS2_S3_S6_S9_SB_S6_PS7_PS2_21rocsparse_index_base_SE_SE_bbb.kd
    .uniform_work_group_size: 1
    .uses_dynamic_stack: false
    .vgpr_count:     38
    .vgpr_spill_count: 0
    .wavefront_size: 32
    .workgroup_processor_mode: 1
  - .args:
      - .offset:         0
        .size:           8
        .value_kind:     by_value
      - .offset:         8
        .size:           8
        .value_kind:     by_value
      - .offset:         16
        .size:           8
        .value_kind:     by_value
      - .actual_access:  read_only
        .address_space:  global
        .offset:         24
        .size:           8
        .value_kind:     global_buffer
      - .actual_access:  read_only
        .address_space:  global
        .offset:         32
        .size:           8
        .value_kind:     global_buffer
      - .actual_access:  read_only
        .address_space:  global
        .offset:         40
        .size:           8
        .value_kind:     global_buffer
      - .offset:         48
        .size:           8
        .value_kind:     by_value
      - .actual_access:  read_only
        .address_space:  global
        .offset:         56
        .size:           8
        .value_kind:     global_buffer
      - .actual_access:  read_only
        .address_space:  global
        .offset:         64
        .size:           8
        .value_kind:     global_buffer
      - .actual_access:  read_only
        .address_space:  global
        .offset:         72
        .size:           8
        .value_kind:     global_buffer
      - .actual_access:  read_only
        .address_space:  global
        .offset:         80
        .size:           8
        .value_kind:     global_buffer
      - .actual_access:  write_only
        .address_space:  global
        .offset:         88
        .size:           8
        .value_kind:     global_buffer
      - .actual_access:  write_only
        .address_space:  global
        .offset:         96
        .size:           8
        .value_kind:     global_buffer
      - .offset:         104
        .size:           4
        .value_kind:     by_value
      - .offset:         108
        .size:           4
        .value_kind:     by_value
      - .offset:         112
        .size:           4
        .value_kind:     by_value
      - .offset:         116
        .size:           1
        .value_kind:     by_value
      - .offset:         117
        .size:           1
        .value_kind:     by_value
      - .offset:         118
        .size:           1
        .value_kind:     by_value
    .group_segment_fixed_size: 1280
    .kernarg_segment_align: 8
    .kernarg_segment_size: 120
    .language:       OpenCL C
    .language_version:
      - 2
      - 0
    .max_flat_workgroup_size: 256
    .name:           _ZN9rocsparseL29csrgeam_fill_multipass_kernelILj256ELj64EllfEEvllNS_24const_host_device_scalarIT3_EEPKT1_PKT2_PKS2_S3_S6_S9_SB_S6_PS7_PS2_21rocsparse_index_base_SE_SE_bbb
    .private_segment_fixed_size: 0
    .sgpr_count:     26
    .sgpr_spill_count: 0
    .symbol:         _ZN9rocsparseL29csrgeam_fill_multipass_kernelILj256ELj64EllfEEvllNS_24const_host_device_scalarIT3_EEPKT1_PKT2_PKS2_S3_S6_S9_SB_S6_PS7_PS2_21rocsparse_index_base_SE_SE_bbb.kd
    .uniform_work_group_size: 1
    .uses_dynamic_stack: false
    .vgpr_count:     39
    .vgpr_spill_count: 0
    .wavefront_size: 32
    .workgroup_processor_mode: 1
  - .args:
      - .offset:         0
        .size:           8
        .value_kind:     by_value
      - .offset:         8
        .size:           8
        .value_kind:     by_value
      - .offset:         16
        .size:           8
        .value_kind:     by_value
      - .actual_access:  read_only
        .address_space:  global
        .offset:         24
        .size:           8
        .value_kind:     global_buffer
      - .actual_access:  read_only
        .address_space:  global
        .offset:         32
        .size:           8
        .value_kind:     global_buffer
      - .actual_access:  read_only
        .address_space:  global
        .offset:         40
        .size:           8
        .value_kind:     global_buffer
      - .offset:         48
        .size:           8
        .value_kind:     by_value
      - .actual_access:  read_only
        .address_space:  global
        .offset:         56
        .size:           8
        .value_kind:     global_buffer
      - .actual_access:  read_only
        .address_space:  global
        .offset:         64
        .size:           8
        .value_kind:     global_buffer
      - .actual_access:  read_only
        .address_space:  global
        .offset:         72
        .size:           8
        .value_kind:     global_buffer
      - .actual_access:  read_only
        .address_space:  global
        .offset:         80
        .size:           8
        .value_kind:     global_buffer
      - .actual_access:  write_only
        .address_space:  global
        .offset:         88
        .size:           8
        .value_kind:     global_buffer
      - .actual_access:  write_only
        .address_space:  global
        .offset:         96
        .size:           8
        .value_kind:     global_buffer
      - .offset:         104
        .size:           4
        .value_kind:     by_value
      - .offset:         108
        .size:           4
        .value_kind:     by_value
      - .offset:         112
        .size:           4
        .value_kind:     by_value
      - .offset:         116
        .size:           1
        .value_kind:     by_value
      - .offset:         117
        .size:           1
        .value_kind:     by_value
      - .offset:         118
        .size:           1
        .value_kind:     by_value
    .group_segment_fixed_size: 2304
    .kernarg_segment_align: 8
    .kernarg_segment_size: 120
    .language:       OpenCL C
    .language_version:
      - 2
      - 0
    .max_flat_workgroup_size: 256
    .name:           _ZN9rocsparseL29csrgeam_fill_multipass_kernelILj256ELj32EiidEEvllNS_24const_host_device_scalarIT3_EEPKT1_PKT2_PKS2_S3_S6_S9_SB_S6_PS7_PS2_21rocsparse_index_base_SE_SE_bbb
    .private_segment_fixed_size: 0
    .sgpr_count:     23
    .sgpr_spill_count: 0
    .symbol:         _ZN9rocsparseL29csrgeam_fill_multipass_kernelILj256ELj32EiidEEvllNS_24const_host_device_scalarIT3_EEPKT1_PKT2_PKS2_S3_S6_S9_SB_S6_PS7_PS2_21rocsparse_index_base_SE_SE_bbb.kd
    .uniform_work_group_size: 1
    .uses_dynamic_stack: false
    .vgpr_count:     34
    .vgpr_spill_count: 0
    .wavefront_size: 32
    .workgroup_processor_mode: 1
  - .args:
      - .offset:         0
        .size:           8
        .value_kind:     by_value
      - .offset:         8
        .size:           8
        .value_kind:     by_value
      - .offset:         16
        .size:           8
        .value_kind:     by_value
      - .actual_access:  read_only
        .address_space:  global
        .offset:         24
        .size:           8
        .value_kind:     global_buffer
      - .actual_access:  read_only
        .address_space:  global
        .offset:         32
        .size:           8
        .value_kind:     global_buffer
      - .actual_access:  read_only
        .address_space:  global
        .offset:         40
        .size:           8
        .value_kind:     global_buffer
      - .offset:         48
        .size:           8
        .value_kind:     by_value
      - .actual_access:  read_only
        .address_space:  global
        .offset:         56
        .size:           8
        .value_kind:     global_buffer
      - .actual_access:  read_only
        .address_space:  global
        .offset:         64
        .size:           8
        .value_kind:     global_buffer
      - .actual_access:  read_only
        .address_space:  global
        .offset:         72
        .size:           8
        .value_kind:     global_buffer
      - .actual_access:  read_only
        .address_space:  global
        .offset:         80
        .size:           8
        .value_kind:     global_buffer
      - .actual_access:  write_only
        .address_space:  global
        .offset:         88
        .size:           8
        .value_kind:     global_buffer
      - .actual_access:  write_only
        .address_space:  global
        .offset:         96
        .size:           8
        .value_kind:     global_buffer
      - .offset:         104
        .size:           4
        .value_kind:     by_value
      - .offset:         108
        .size:           4
        .value_kind:     by_value
      - .offset:         112
        .size:           4
        .value_kind:     by_value
      - .offset:         116
        .size:           1
        .value_kind:     by_value
      - .offset:         117
        .size:           1
        .value_kind:     by_value
      - .offset:         118
        .size:           1
        .value_kind:     by_value
    .group_segment_fixed_size: 2304
    .kernarg_segment_align: 8
    .kernarg_segment_size: 120
    .language:       OpenCL C
    .language_version:
      - 2
      - 0
    .max_flat_workgroup_size: 256
    .name:           _ZN9rocsparseL29csrgeam_fill_multipass_kernelILj256ELj64EiidEEvllNS_24const_host_device_scalarIT3_EEPKT1_PKT2_PKS2_S3_S6_S9_SB_S6_PS7_PS2_21rocsparse_index_base_SE_SE_bbb
    .private_segment_fixed_size: 0
    .sgpr_count:     23
    .sgpr_spill_count: 0
    .symbol:         _ZN9rocsparseL29csrgeam_fill_multipass_kernelILj256ELj64EiidEEvllNS_24const_host_device_scalarIT3_EEPKT1_PKT2_PKS2_S3_S6_S9_SB_S6_PS7_PS2_21rocsparse_index_base_SE_SE_bbb.kd
    .uniform_work_group_size: 1
    .uses_dynamic_stack: false
    .vgpr_count:     35
    .vgpr_spill_count: 0
    .wavefront_size: 32
    .workgroup_processor_mode: 1
  - .args:
      - .offset:         0
        .size:           8
        .value_kind:     by_value
      - .offset:         8
        .size:           8
        .value_kind:     by_value
      - .offset:         16
        .size:           8
        .value_kind:     by_value
      - .actual_access:  read_only
        .address_space:  global
        .offset:         24
        .size:           8
        .value_kind:     global_buffer
      - .actual_access:  read_only
        .address_space:  global
        .offset:         32
        .size:           8
        .value_kind:     global_buffer
      - .actual_access:  read_only
        .address_space:  global
        .offset:         40
        .size:           8
        .value_kind:     global_buffer
      - .offset:         48
        .size:           8
        .value_kind:     by_value
      - .actual_access:  read_only
        .address_space:  global
        .offset:         56
        .size:           8
        .value_kind:     global_buffer
      - .actual_access:  read_only
        .address_space:  global
        .offset:         64
        .size:           8
        .value_kind:     global_buffer
      - .actual_access:  read_only
        .address_space:  global
        .offset:         72
        .size:           8
        .value_kind:     global_buffer
      - .actual_access:  read_only
        .address_space:  global
        .offset:         80
        .size:           8
        .value_kind:     global_buffer
      - .actual_access:  write_only
        .address_space:  global
        .offset:         88
        .size:           8
        .value_kind:     global_buffer
      - .actual_access:  write_only
        .address_space:  global
        .offset:         96
        .size:           8
        .value_kind:     global_buffer
      - .offset:         104
        .size:           4
        .value_kind:     by_value
      - .offset:         108
        .size:           4
        .value_kind:     by_value
      - .offset:         112
        .size:           4
        .value_kind:     by_value
      - .offset:         116
        .size:           1
        .value_kind:     by_value
      - .offset:         117
        .size:           1
        .value_kind:     by_value
      - .offset:         118
        .size:           1
        .value_kind:     by_value
    .group_segment_fixed_size: 2304
    .kernarg_segment_align: 8
    .kernarg_segment_size: 120
    .language:       OpenCL C
    .language_version:
      - 2
      - 0
    .max_flat_workgroup_size: 256
    .name:           _ZN9rocsparseL29csrgeam_fill_multipass_kernelILj256ELj32ElidEEvllNS_24const_host_device_scalarIT3_EEPKT1_PKT2_PKS2_S3_S6_S9_SB_S6_PS7_PS2_21rocsparse_index_base_SE_SE_bbb
    .private_segment_fixed_size: 0
    .sgpr_count:     23
    .sgpr_spill_count: 0
    .symbol:         _ZN9rocsparseL29csrgeam_fill_multipass_kernelILj256ELj32ElidEEvllNS_24const_host_device_scalarIT3_EEPKT1_PKT2_PKS2_S3_S6_S9_SB_S6_PS7_PS2_21rocsparse_index_base_SE_SE_bbb.kd
    .uniform_work_group_size: 1
    .uses_dynamic_stack: false
    .vgpr_count:     41
    .vgpr_spill_count: 0
    .wavefront_size: 32
    .workgroup_processor_mode: 1
  - .args:
      - .offset:         0
        .size:           8
        .value_kind:     by_value
      - .offset:         8
        .size:           8
        .value_kind:     by_value
      - .offset:         16
        .size:           8
        .value_kind:     by_value
      - .actual_access:  read_only
        .address_space:  global
        .offset:         24
        .size:           8
        .value_kind:     global_buffer
      - .actual_access:  read_only
        .address_space:  global
        .offset:         32
        .size:           8
        .value_kind:     global_buffer
      - .actual_access:  read_only
        .address_space:  global
        .offset:         40
        .size:           8
        .value_kind:     global_buffer
      - .offset:         48
        .size:           8
        .value_kind:     by_value
      - .actual_access:  read_only
        .address_space:  global
        .offset:         56
        .size:           8
        .value_kind:     global_buffer
      - .actual_access:  read_only
        .address_space:  global
        .offset:         64
        .size:           8
        .value_kind:     global_buffer
      - .actual_access:  read_only
        .address_space:  global
        .offset:         72
        .size:           8
        .value_kind:     global_buffer
      - .actual_access:  read_only
        .address_space:  global
        .offset:         80
        .size:           8
        .value_kind:     global_buffer
      - .actual_access:  write_only
        .address_space:  global
        .offset:         88
        .size:           8
        .value_kind:     global_buffer
      - .actual_access:  write_only
        .address_space:  global
        .offset:         96
        .size:           8
        .value_kind:     global_buffer
      - .offset:         104
        .size:           4
        .value_kind:     by_value
      - .offset:         108
        .size:           4
        .value_kind:     by_value
      - .offset:         112
        .size:           4
        .value_kind:     by_value
      - .offset:         116
        .size:           1
        .value_kind:     by_value
      - .offset:         117
        .size:           1
        .value_kind:     by_value
      - .offset:         118
        .size:           1
        .value_kind:     by_value
    .group_segment_fixed_size: 2304
    .kernarg_segment_align: 8
    .kernarg_segment_size: 120
    .language:       OpenCL C
    .language_version:
      - 2
      - 0
    .max_flat_workgroup_size: 256
    .name:           _ZN9rocsparseL29csrgeam_fill_multipass_kernelILj256ELj64ElidEEvllNS_24const_host_device_scalarIT3_EEPKT1_PKT2_PKS2_S3_S6_S9_SB_S6_PS7_PS2_21rocsparse_index_base_SE_SE_bbb
    .private_segment_fixed_size: 0
    .sgpr_count:     23
    .sgpr_spill_count: 0
    .symbol:         _ZN9rocsparseL29csrgeam_fill_multipass_kernelILj256ELj64ElidEEvllNS_24const_host_device_scalarIT3_EEPKT1_PKT2_PKS2_S3_S6_S9_SB_S6_PS7_PS2_21rocsparse_index_base_SE_SE_bbb.kd
    .uniform_work_group_size: 1
    .uses_dynamic_stack: false
    .vgpr_count:     42
    .vgpr_spill_count: 0
    .wavefront_size: 32
    .workgroup_processor_mode: 1
  - .args:
      - .offset:         0
        .size:           8
        .value_kind:     by_value
      - .offset:         8
        .size:           8
        .value_kind:     by_value
      - .offset:         16
        .size:           8
        .value_kind:     by_value
      - .actual_access:  read_only
        .address_space:  global
        .offset:         24
        .size:           8
        .value_kind:     global_buffer
      - .actual_access:  read_only
        .address_space:  global
        .offset:         32
        .size:           8
        .value_kind:     global_buffer
      - .actual_access:  read_only
        .address_space:  global
        .offset:         40
        .size:           8
        .value_kind:     global_buffer
      - .offset:         48
        .size:           8
        .value_kind:     by_value
      - .actual_access:  read_only
        .address_space:  global
        .offset:         56
        .size:           8
        .value_kind:     global_buffer
      - .actual_access:  read_only
        .address_space:  global
        .offset:         64
        .size:           8
        .value_kind:     global_buffer
      - .actual_access:  read_only
        .address_space:  global
        .offset:         72
        .size:           8
        .value_kind:     global_buffer
      - .actual_access:  read_only
        .address_space:  global
        .offset:         80
        .size:           8
        .value_kind:     global_buffer
      - .actual_access:  write_only
        .address_space:  global
        .offset:         88
        .size:           8
        .value_kind:     global_buffer
      - .actual_access:  write_only
        .address_space:  global
        .offset:         96
        .size:           8
        .value_kind:     global_buffer
      - .offset:         104
        .size:           4
        .value_kind:     by_value
      - .offset:         108
        .size:           4
        .value_kind:     by_value
      - .offset:         112
        .size:           4
        .value_kind:     by_value
      - .offset:         116
        .size:           1
        .value_kind:     by_value
      - .offset:         117
        .size:           1
        .value_kind:     by_value
      - .offset:         118
        .size:           1
        .value_kind:     by_value
    .group_segment_fixed_size: 2304
    .kernarg_segment_align: 8
    .kernarg_segment_size: 120
    .language:       OpenCL C
    .language_version:
      - 2
      - 0
    .max_flat_workgroup_size: 256
    .name:           _ZN9rocsparseL29csrgeam_fill_multipass_kernelILj256ELj32ElldEEvllNS_24const_host_device_scalarIT3_EEPKT1_PKT2_PKS2_S3_S6_S9_SB_S6_PS7_PS2_21rocsparse_index_base_SE_SE_bbb
    .private_segment_fixed_size: 0
    .sgpr_count:     26
    .sgpr_spill_count: 0
    .symbol:         _ZN9rocsparseL29csrgeam_fill_multipass_kernelILj256ELj32ElldEEvllNS_24const_host_device_scalarIT3_EEPKT1_PKT2_PKS2_S3_S6_S9_SB_S6_PS7_PS2_21rocsparse_index_base_SE_SE_bbb.kd
    .uniform_work_group_size: 1
    .uses_dynamic_stack: false
    .vgpr_count:     43
    .vgpr_spill_count: 0
    .wavefront_size: 32
    .workgroup_processor_mode: 1
  - .args:
      - .offset:         0
        .size:           8
        .value_kind:     by_value
      - .offset:         8
        .size:           8
        .value_kind:     by_value
      - .offset:         16
        .size:           8
        .value_kind:     by_value
      - .actual_access:  read_only
        .address_space:  global
        .offset:         24
        .size:           8
        .value_kind:     global_buffer
      - .actual_access:  read_only
        .address_space:  global
        .offset:         32
        .size:           8
        .value_kind:     global_buffer
      - .actual_access:  read_only
        .address_space:  global
        .offset:         40
        .size:           8
        .value_kind:     global_buffer
      - .offset:         48
        .size:           8
        .value_kind:     by_value
      - .actual_access:  read_only
        .address_space:  global
        .offset:         56
        .size:           8
        .value_kind:     global_buffer
      - .actual_access:  read_only
        .address_space:  global
        .offset:         64
        .size:           8
        .value_kind:     global_buffer
      - .actual_access:  read_only
        .address_space:  global
        .offset:         72
        .size:           8
        .value_kind:     global_buffer
      - .actual_access:  read_only
        .address_space:  global
        .offset:         80
        .size:           8
        .value_kind:     global_buffer
      - .actual_access:  write_only
        .address_space:  global
        .offset:         88
        .size:           8
        .value_kind:     global_buffer
      - .actual_access:  write_only
        .address_space:  global
        .offset:         96
        .size:           8
        .value_kind:     global_buffer
      - .offset:         104
        .size:           4
        .value_kind:     by_value
      - .offset:         108
        .size:           4
        .value_kind:     by_value
      - .offset:         112
        .size:           4
        .value_kind:     by_value
      - .offset:         116
        .size:           1
        .value_kind:     by_value
      - .offset:         117
        .size:           1
        .value_kind:     by_value
      - .offset:         118
        .size:           1
        .value_kind:     by_value
    .group_segment_fixed_size: 2304
    .kernarg_segment_align: 8
    .kernarg_segment_size: 120
    .language:       OpenCL C
    .language_version:
      - 2
      - 0
    .max_flat_workgroup_size: 256
    .name:           _ZN9rocsparseL29csrgeam_fill_multipass_kernelILj256ELj64ElldEEvllNS_24const_host_device_scalarIT3_EEPKT1_PKT2_PKS2_S3_S6_S9_SB_S6_PS7_PS2_21rocsparse_index_base_SE_SE_bbb
    .private_segment_fixed_size: 0
    .sgpr_count:     26
    .sgpr_spill_count: 0
    .symbol:         _ZN9rocsparseL29csrgeam_fill_multipass_kernelILj256ELj64ElldEEvllNS_24const_host_device_scalarIT3_EEPKT1_PKT2_PKS2_S3_S6_S9_SB_S6_PS7_PS2_21rocsparse_index_base_SE_SE_bbb.kd
    .uniform_work_group_size: 1
    .uses_dynamic_stack: false
    .vgpr_count:     44
    .vgpr_spill_count: 0
    .wavefront_size: 32
    .workgroup_processor_mode: 1
  - .args:
      - .offset:         0
        .size:           8
        .value_kind:     by_value
      - .offset:         8
        .size:           8
        .value_kind:     by_value
      - .offset:         16
        .size:           8
        .value_kind:     by_value
      - .actual_access:  read_only
        .address_space:  global
        .offset:         24
        .size:           8
        .value_kind:     global_buffer
      - .actual_access:  read_only
        .address_space:  global
        .offset:         32
        .size:           8
        .value_kind:     global_buffer
      - .actual_access:  read_only
        .address_space:  global
        .offset:         40
        .size:           8
        .value_kind:     global_buffer
      - .offset:         48
        .size:           8
        .value_kind:     by_value
      - .actual_access:  read_only
        .address_space:  global
        .offset:         56
        .size:           8
        .value_kind:     global_buffer
      - .actual_access:  read_only
        .address_space:  global
        .offset:         64
        .size:           8
        .value_kind:     global_buffer
      - .actual_access:  read_only
        .address_space:  global
        .offset:         72
        .size:           8
        .value_kind:     global_buffer
      - .actual_access:  read_only
        .address_space:  global
        .offset:         80
        .size:           8
        .value_kind:     global_buffer
      - .actual_access:  write_only
        .address_space:  global
        .offset:         88
        .size:           8
        .value_kind:     global_buffer
      - .actual_access:  write_only
        .address_space:  global
        .offset:         96
        .size:           8
        .value_kind:     global_buffer
      - .offset:         104
        .size:           4
        .value_kind:     by_value
      - .offset:         108
        .size:           4
        .value_kind:     by_value
      - .offset:         112
        .size:           4
        .value_kind:     by_value
      - .offset:         116
        .size:           1
        .value_kind:     by_value
      - .offset:         117
        .size:           1
        .value_kind:     by_value
      - .offset:         118
        .size:           1
        .value_kind:     by_value
    .group_segment_fixed_size: 2304
    .kernarg_segment_align: 8
    .kernarg_segment_size: 120
    .language:       OpenCL C
    .language_version:
      - 2
      - 0
    .max_flat_workgroup_size: 256
    .name:           _ZN9rocsparseL29csrgeam_fill_multipass_kernelILj256ELj32Eii21rocsparse_complex_numIfEEEvllNS_24const_host_device_scalarIT3_EEPKT1_PKT2_PKS4_S5_S8_SB_SD_S8_PS9_PS4_21rocsparse_index_base_SG_SG_bbb
    .private_segment_fixed_size: 0
    .sgpr_count:     42
    .sgpr_spill_count: 0
    .symbol:         _ZN9rocsparseL29csrgeam_fill_multipass_kernelILj256ELj32Eii21rocsparse_complex_numIfEEEvllNS_24const_host_device_scalarIT3_EEPKT1_PKT2_PKS4_S5_S8_SB_SD_S8_PS9_PS4_21rocsparse_index_base_SG_SG_bbb.kd
    .uniform_work_group_size: 1
    .uses_dynamic_stack: false
    .vgpr_count:     30
    .vgpr_spill_count: 0
    .wavefront_size: 32
    .workgroup_processor_mode: 1
  - .args:
      - .offset:         0
        .size:           8
        .value_kind:     by_value
      - .offset:         8
        .size:           8
        .value_kind:     by_value
      - .offset:         16
        .size:           8
        .value_kind:     by_value
      - .actual_access:  read_only
        .address_space:  global
        .offset:         24
        .size:           8
        .value_kind:     global_buffer
      - .actual_access:  read_only
        .address_space:  global
        .offset:         32
        .size:           8
        .value_kind:     global_buffer
      - .actual_access:  read_only
        .address_space:  global
        .offset:         40
        .size:           8
        .value_kind:     global_buffer
      - .offset:         48
        .size:           8
        .value_kind:     by_value
      - .actual_access:  read_only
        .address_space:  global
        .offset:         56
        .size:           8
        .value_kind:     global_buffer
      - .actual_access:  read_only
        .address_space:  global
        .offset:         64
        .size:           8
        .value_kind:     global_buffer
      - .actual_access:  read_only
        .address_space:  global
        .offset:         72
        .size:           8
        .value_kind:     global_buffer
      - .actual_access:  read_only
        .address_space:  global
        .offset:         80
        .size:           8
        .value_kind:     global_buffer
      - .actual_access:  write_only
        .address_space:  global
        .offset:         88
        .size:           8
        .value_kind:     global_buffer
      - .actual_access:  write_only
        .address_space:  global
        .offset:         96
        .size:           8
        .value_kind:     global_buffer
      - .offset:         104
        .size:           4
        .value_kind:     by_value
      - .offset:         108
        .size:           4
        .value_kind:     by_value
      - .offset:         112
        .size:           4
        .value_kind:     by_value
      - .offset:         116
        .size:           1
        .value_kind:     by_value
      - .offset:         117
        .size:           1
        .value_kind:     by_value
      - .offset:         118
        .size:           1
        .value_kind:     by_value
    .group_segment_fixed_size: 2304
    .kernarg_segment_align: 8
    .kernarg_segment_size: 120
    .language:       OpenCL C
    .language_version:
      - 2
      - 0
    .max_flat_workgroup_size: 256
    .name:           _ZN9rocsparseL29csrgeam_fill_multipass_kernelILj256ELj64Eii21rocsparse_complex_numIfEEEvllNS_24const_host_device_scalarIT3_EEPKT1_PKT2_PKS4_S5_S8_SB_SD_S8_PS9_PS4_21rocsparse_index_base_SG_SG_bbb
    .private_segment_fixed_size: 0
    .sgpr_count:     42
    .sgpr_spill_count: 0
    .symbol:         _ZN9rocsparseL29csrgeam_fill_multipass_kernelILj256ELj64Eii21rocsparse_complex_numIfEEEvllNS_24const_host_device_scalarIT3_EEPKT1_PKT2_PKS4_S5_S8_SB_SD_S8_PS9_PS4_21rocsparse_index_base_SG_SG_bbb.kd
    .uniform_work_group_size: 1
    .uses_dynamic_stack: false
    .vgpr_count:     31
    .vgpr_spill_count: 0
    .wavefront_size: 32
    .workgroup_processor_mode: 1
  - .args:
      - .offset:         0
        .size:           8
        .value_kind:     by_value
      - .offset:         8
        .size:           8
        .value_kind:     by_value
      - .offset:         16
        .size:           8
        .value_kind:     by_value
      - .actual_access:  read_only
        .address_space:  global
        .offset:         24
        .size:           8
        .value_kind:     global_buffer
      - .actual_access:  read_only
        .address_space:  global
        .offset:         32
        .size:           8
        .value_kind:     global_buffer
      - .actual_access:  read_only
        .address_space:  global
        .offset:         40
        .size:           8
        .value_kind:     global_buffer
      - .offset:         48
        .size:           8
        .value_kind:     by_value
      - .actual_access:  read_only
        .address_space:  global
        .offset:         56
        .size:           8
        .value_kind:     global_buffer
      - .actual_access:  read_only
        .address_space:  global
        .offset:         64
        .size:           8
        .value_kind:     global_buffer
      - .actual_access:  read_only
        .address_space:  global
        .offset:         72
        .size:           8
        .value_kind:     global_buffer
      - .actual_access:  read_only
        .address_space:  global
        .offset:         80
        .size:           8
        .value_kind:     global_buffer
      - .actual_access:  write_only
        .address_space:  global
        .offset:         88
        .size:           8
        .value_kind:     global_buffer
      - .actual_access:  write_only
        .address_space:  global
        .offset:         96
        .size:           8
        .value_kind:     global_buffer
      - .offset:         104
        .size:           4
        .value_kind:     by_value
      - .offset:         108
        .size:           4
        .value_kind:     by_value
      - .offset:         112
        .size:           4
        .value_kind:     by_value
      - .offset:         116
        .size:           1
        .value_kind:     by_value
      - .offset:         117
        .size:           1
        .value_kind:     by_value
      - .offset:         118
        .size:           1
        .value_kind:     by_value
    .group_segment_fixed_size: 2304
    .kernarg_segment_align: 8
    .kernarg_segment_size: 120
    .language:       OpenCL C
    .language_version:
      - 2
      - 0
    .max_flat_workgroup_size: 256
    .name:           _ZN9rocsparseL29csrgeam_fill_multipass_kernelILj256ELj32Eli21rocsparse_complex_numIfEEEvllNS_24const_host_device_scalarIT3_EEPKT1_PKT2_PKS4_S5_S8_SB_SD_S8_PS9_PS4_21rocsparse_index_base_SG_SG_bbb
    .private_segment_fixed_size: 0
    .sgpr_count:     42
    .sgpr_spill_count: 0
    .symbol:         _ZN9rocsparseL29csrgeam_fill_multipass_kernelILj256ELj32Eli21rocsparse_complex_numIfEEEvllNS_24const_host_device_scalarIT3_EEPKT1_PKT2_PKS4_S5_S8_SB_SD_S8_PS9_PS4_21rocsparse_index_base_SG_SG_bbb.kd
    .uniform_work_group_size: 1
    .uses_dynamic_stack: false
    .vgpr_count:     37
    .vgpr_spill_count: 0
    .wavefront_size: 32
    .workgroup_processor_mode: 1
  - .args:
      - .offset:         0
        .size:           8
        .value_kind:     by_value
      - .offset:         8
        .size:           8
        .value_kind:     by_value
      - .offset:         16
        .size:           8
        .value_kind:     by_value
      - .actual_access:  read_only
        .address_space:  global
        .offset:         24
        .size:           8
        .value_kind:     global_buffer
      - .actual_access:  read_only
        .address_space:  global
        .offset:         32
        .size:           8
        .value_kind:     global_buffer
      - .actual_access:  read_only
        .address_space:  global
        .offset:         40
        .size:           8
        .value_kind:     global_buffer
      - .offset:         48
        .size:           8
        .value_kind:     by_value
      - .actual_access:  read_only
        .address_space:  global
        .offset:         56
        .size:           8
        .value_kind:     global_buffer
      - .actual_access:  read_only
        .address_space:  global
        .offset:         64
        .size:           8
        .value_kind:     global_buffer
      - .actual_access:  read_only
        .address_space:  global
        .offset:         72
        .size:           8
        .value_kind:     global_buffer
      - .actual_access:  read_only
        .address_space:  global
        .offset:         80
        .size:           8
        .value_kind:     global_buffer
      - .actual_access:  write_only
        .address_space:  global
        .offset:         88
        .size:           8
        .value_kind:     global_buffer
      - .actual_access:  write_only
        .address_space:  global
        .offset:         96
        .size:           8
        .value_kind:     global_buffer
      - .offset:         104
        .size:           4
        .value_kind:     by_value
      - .offset:         108
        .size:           4
        .value_kind:     by_value
      - .offset:         112
        .size:           4
        .value_kind:     by_value
      - .offset:         116
        .size:           1
        .value_kind:     by_value
      - .offset:         117
        .size:           1
        .value_kind:     by_value
      - .offset:         118
        .size:           1
        .value_kind:     by_value
    .group_segment_fixed_size: 2304
    .kernarg_segment_align: 8
    .kernarg_segment_size: 120
    .language:       OpenCL C
    .language_version:
      - 2
      - 0
    .max_flat_workgroup_size: 256
    .name:           _ZN9rocsparseL29csrgeam_fill_multipass_kernelILj256ELj64Eli21rocsparse_complex_numIfEEEvllNS_24const_host_device_scalarIT3_EEPKT1_PKT2_PKS4_S5_S8_SB_SD_S8_PS9_PS4_21rocsparse_index_base_SG_SG_bbb
    .private_segment_fixed_size: 0
    .sgpr_count:     42
    .sgpr_spill_count: 0
    .symbol:         _ZN9rocsparseL29csrgeam_fill_multipass_kernelILj256ELj64Eli21rocsparse_complex_numIfEEEvllNS_24const_host_device_scalarIT3_EEPKT1_PKT2_PKS4_S5_S8_SB_SD_S8_PS9_PS4_21rocsparse_index_base_SG_SG_bbb.kd
    .uniform_work_group_size: 1
    .uses_dynamic_stack: false
    .vgpr_count:     38
    .vgpr_spill_count: 0
    .wavefront_size: 32
    .workgroup_processor_mode: 1
  - .args:
      - .offset:         0
        .size:           8
        .value_kind:     by_value
      - .offset:         8
        .size:           8
        .value_kind:     by_value
      - .offset:         16
        .size:           8
        .value_kind:     by_value
      - .actual_access:  read_only
        .address_space:  global
        .offset:         24
        .size:           8
        .value_kind:     global_buffer
      - .actual_access:  read_only
        .address_space:  global
        .offset:         32
        .size:           8
        .value_kind:     global_buffer
      - .actual_access:  read_only
        .address_space:  global
        .offset:         40
        .size:           8
        .value_kind:     global_buffer
      - .offset:         48
        .size:           8
        .value_kind:     by_value
      - .actual_access:  read_only
        .address_space:  global
        .offset:         56
        .size:           8
        .value_kind:     global_buffer
      - .actual_access:  read_only
        .address_space:  global
        .offset:         64
        .size:           8
        .value_kind:     global_buffer
      - .actual_access:  read_only
        .address_space:  global
        .offset:         72
        .size:           8
        .value_kind:     global_buffer
      - .actual_access:  read_only
        .address_space:  global
        .offset:         80
        .size:           8
        .value_kind:     global_buffer
      - .actual_access:  write_only
        .address_space:  global
        .offset:         88
        .size:           8
        .value_kind:     global_buffer
      - .actual_access:  write_only
        .address_space:  global
        .offset:         96
        .size:           8
        .value_kind:     global_buffer
      - .offset:         104
        .size:           4
        .value_kind:     by_value
      - .offset:         108
        .size:           4
        .value_kind:     by_value
      - .offset:         112
        .size:           4
        .value_kind:     by_value
      - .offset:         116
        .size:           1
        .value_kind:     by_value
      - .offset:         117
        .size:           1
        .value_kind:     by_value
      - .offset:         118
        .size:           1
        .value_kind:     by_value
    .group_segment_fixed_size: 2304
    .kernarg_segment_align: 8
    .kernarg_segment_size: 120
    .language:       OpenCL C
    .language_version:
      - 2
      - 0
    .max_flat_workgroup_size: 256
    .name:           _ZN9rocsparseL29csrgeam_fill_multipass_kernelILj256ELj32Ell21rocsparse_complex_numIfEEEvllNS_24const_host_device_scalarIT3_EEPKT1_PKT2_PKS4_S5_S8_SB_SD_S8_PS9_PS4_21rocsparse_index_base_SG_SG_bbb
    .private_segment_fixed_size: 0
    .sgpr_count:     42
    .sgpr_spill_count: 0
    .symbol:         _ZN9rocsparseL29csrgeam_fill_multipass_kernelILj256ELj32Ell21rocsparse_complex_numIfEEEvllNS_24const_host_device_scalarIT3_EEPKT1_PKT2_PKS4_S5_S8_SB_SD_S8_PS9_PS4_21rocsparse_index_base_SG_SG_bbb.kd
    .uniform_work_group_size: 1
    .uses_dynamic_stack: false
    .vgpr_count:     39
    .vgpr_spill_count: 0
    .wavefront_size: 32
    .workgroup_processor_mode: 1
  - .args:
      - .offset:         0
        .size:           8
        .value_kind:     by_value
      - .offset:         8
        .size:           8
        .value_kind:     by_value
      - .offset:         16
        .size:           8
        .value_kind:     by_value
      - .actual_access:  read_only
        .address_space:  global
        .offset:         24
        .size:           8
        .value_kind:     global_buffer
      - .actual_access:  read_only
        .address_space:  global
        .offset:         32
        .size:           8
        .value_kind:     global_buffer
      - .actual_access:  read_only
        .address_space:  global
        .offset:         40
        .size:           8
        .value_kind:     global_buffer
      - .offset:         48
        .size:           8
        .value_kind:     by_value
      - .actual_access:  read_only
        .address_space:  global
        .offset:         56
        .size:           8
        .value_kind:     global_buffer
      - .actual_access:  read_only
        .address_space:  global
        .offset:         64
        .size:           8
        .value_kind:     global_buffer
      - .actual_access:  read_only
        .address_space:  global
        .offset:         72
        .size:           8
        .value_kind:     global_buffer
      - .actual_access:  read_only
        .address_space:  global
        .offset:         80
        .size:           8
        .value_kind:     global_buffer
      - .actual_access:  write_only
        .address_space:  global
        .offset:         88
        .size:           8
        .value_kind:     global_buffer
      - .actual_access:  write_only
        .address_space:  global
        .offset:         96
        .size:           8
        .value_kind:     global_buffer
      - .offset:         104
        .size:           4
        .value_kind:     by_value
      - .offset:         108
        .size:           4
        .value_kind:     by_value
      - .offset:         112
        .size:           4
        .value_kind:     by_value
      - .offset:         116
        .size:           1
        .value_kind:     by_value
      - .offset:         117
        .size:           1
        .value_kind:     by_value
      - .offset:         118
        .size:           1
        .value_kind:     by_value
    .group_segment_fixed_size: 2304
    .kernarg_segment_align: 8
    .kernarg_segment_size: 120
    .language:       OpenCL C
    .language_version:
      - 2
      - 0
    .max_flat_workgroup_size: 256
    .name:           _ZN9rocsparseL29csrgeam_fill_multipass_kernelILj256ELj64Ell21rocsparse_complex_numIfEEEvllNS_24const_host_device_scalarIT3_EEPKT1_PKT2_PKS4_S5_S8_SB_SD_S8_PS9_PS4_21rocsparse_index_base_SG_SG_bbb
    .private_segment_fixed_size: 0
    .sgpr_count:     42
    .sgpr_spill_count: 0
    .symbol:         _ZN9rocsparseL29csrgeam_fill_multipass_kernelILj256ELj64Ell21rocsparse_complex_numIfEEEvllNS_24const_host_device_scalarIT3_EEPKT1_PKT2_PKS4_S5_S8_SB_SD_S8_PS9_PS4_21rocsparse_index_base_SG_SG_bbb.kd
    .uniform_work_group_size: 1
    .uses_dynamic_stack: false
    .vgpr_count:     40
    .vgpr_spill_count: 0
    .wavefront_size: 32
    .workgroup_processor_mode: 1
  - .args:
      - .offset:         0
        .size:           8
        .value_kind:     by_value
      - .offset:         8
        .size:           8
        .value_kind:     by_value
      - .offset:         16
        .size:           16
        .value_kind:     by_value
      - .actual_access:  read_only
        .address_space:  global
        .offset:         32
        .size:           8
        .value_kind:     global_buffer
      - .actual_access:  read_only
        .address_space:  global
        .offset:         40
        .size:           8
        .value_kind:     global_buffer
      - .actual_access:  read_only
        .address_space:  global
        .offset:         48
        .size:           8
        .value_kind:     global_buffer
      - .offset:         56
        .size:           16
        .value_kind:     by_value
      - .actual_access:  read_only
        .address_space:  global
        .offset:         72
        .size:           8
        .value_kind:     global_buffer
      - .actual_access:  read_only
        .address_space:  global
        .offset:         80
        .size:           8
        .value_kind:     global_buffer
      - .actual_access:  read_only
        .address_space:  global
        .offset:         88
        .size:           8
        .value_kind:     global_buffer
      - .actual_access:  read_only
        .address_space:  global
        .offset:         96
        .size:           8
        .value_kind:     global_buffer
      - .actual_access:  write_only
        .address_space:  global
        .offset:         104
        .size:           8
        .value_kind:     global_buffer
      - .actual_access:  write_only
        .address_space:  global
        .offset:         112
        .size:           8
        .value_kind:     global_buffer
      - .offset:         120
        .size:           4
        .value_kind:     by_value
      - .offset:         124
        .size:           4
        .value_kind:     by_value
      - .offset:         128
        .size:           4
        .value_kind:     by_value
      - .offset:         132
        .size:           1
        .value_kind:     by_value
      - .offset:         133
        .size:           1
        .value_kind:     by_value
      - .offset:         134
        .size:           1
        .value_kind:     by_value
    .group_segment_fixed_size: 8448
    .kernarg_segment_align: 8
    .kernarg_segment_size: 136
    .language:       OpenCL C
    .language_version:
      - 2
      - 0
    .max_flat_workgroup_size: 256
    .name:           _ZN9rocsparseL29csrgeam_fill_multipass_kernelILj256ELj32Eii21rocsparse_complex_numIdEEEvllNS_24const_host_device_scalarIT3_EEPKT1_PKT2_PKS4_S5_S8_SB_SD_S8_PS9_PS4_21rocsparse_index_base_SG_SG_bbb
    .private_segment_fixed_size: 0
    .sgpr_count:     28
    .sgpr_spill_count: 0
    .symbol:         _ZN9rocsparseL29csrgeam_fill_multipass_kernelILj256ELj32Eii21rocsparse_complex_numIdEEEvllNS_24const_host_device_scalarIT3_EEPKT1_PKT2_PKS4_S5_S8_SB_SD_S8_PS9_PS4_21rocsparse_index_base_SG_SG_bbb.kd
    .uniform_work_group_size: 1
    .uses_dynamic_stack: false
    .vgpr_count:     44
    .vgpr_spill_count: 0
    .wavefront_size: 32
    .workgroup_processor_mode: 1
  - .args:
      - .offset:         0
        .size:           8
        .value_kind:     by_value
      - .offset:         8
        .size:           8
        .value_kind:     by_value
      - .offset:         16
        .size:           16
        .value_kind:     by_value
      - .actual_access:  read_only
        .address_space:  global
        .offset:         32
        .size:           8
        .value_kind:     global_buffer
      - .actual_access:  read_only
        .address_space:  global
        .offset:         40
        .size:           8
        .value_kind:     global_buffer
      - .actual_access:  read_only
        .address_space:  global
        .offset:         48
        .size:           8
        .value_kind:     global_buffer
      - .offset:         56
        .size:           16
        .value_kind:     by_value
      - .actual_access:  read_only
        .address_space:  global
        .offset:         72
        .size:           8
        .value_kind:     global_buffer
      - .actual_access:  read_only
        .address_space:  global
        .offset:         80
        .size:           8
        .value_kind:     global_buffer
      - .actual_access:  read_only
        .address_space:  global
        .offset:         88
        .size:           8
        .value_kind:     global_buffer
      - .actual_access:  read_only
        .address_space:  global
        .offset:         96
        .size:           8
        .value_kind:     global_buffer
      - .actual_access:  write_only
        .address_space:  global
        .offset:         104
        .size:           8
        .value_kind:     global_buffer
      - .actual_access:  write_only
        .address_space:  global
        .offset:         112
        .size:           8
        .value_kind:     global_buffer
      - .offset:         120
        .size:           4
        .value_kind:     by_value
      - .offset:         124
        .size:           4
        .value_kind:     by_value
      - .offset:         128
        .size:           4
        .value_kind:     by_value
      - .offset:         132
        .size:           1
        .value_kind:     by_value
      - .offset:         133
        .size:           1
        .value_kind:     by_value
      - .offset:         134
        .size:           1
        .value_kind:     by_value
    .group_segment_fixed_size: 8448
    .kernarg_segment_align: 8
    .kernarg_segment_size: 136
    .language:       OpenCL C
    .language_version:
      - 2
      - 0
    .max_flat_workgroup_size: 256
    .name:           _ZN9rocsparseL29csrgeam_fill_multipass_kernelILj256ELj64Eii21rocsparse_complex_numIdEEEvllNS_24const_host_device_scalarIT3_EEPKT1_PKT2_PKS4_S5_S8_SB_SD_S8_PS9_PS4_21rocsparse_index_base_SG_SG_bbb
    .private_segment_fixed_size: 0
    .sgpr_count:     28
    .sgpr_spill_count: 0
    .symbol:         _ZN9rocsparseL29csrgeam_fill_multipass_kernelILj256ELj64Eii21rocsparse_complex_numIdEEEvllNS_24const_host_device_scalarIT3_EEPKT1_PKT2_PKS4_S5_S8_SB_SD_S8_PS9_PS4_21rocsparse_index_base_SG_SG_bbb.kd
    .uniform_work_group_size: 1
    .uses_dynamic_stack: false
    .vgpr_count:     45
    .vgpr_spill_count: 0
    .wavefront_size: 32
    .workgroup_processor_mode: 1
  - .args:
      - .offset:         0
        .size:           8
        .value_kind:     by_value
      - .offset:         8
        .size:           8
        .value_kind:     by_value
      - .offset:         16
        .size:           16
        .value_kind:     by_value
      - .actual_access:  read_only
        .address_space:  global
        .offset:         32
        .size:           8
        .value_kind:     global_buffer
      - .actual_access:  read_only
        .address_space:  global
        .offset:         40
        .size:           8
        .value_kind:     global_buffer
      - .actual_access:  read_only
        .address_space:  global
        .offset:         48
        .size:           8
        .value_kind:     global_buffer
      - .offset:         56
        .size:           16
        .value_kind:     by_value
      - .actual_access:  read_only
        .address_space:  global
        .offset:         72
        .size:           8
        .value_kind:     global_buffer
      - .actual_access:  read_only
        .address_space:  global
        .offset:         80
        .size:           8
        .value_kind:     global_buffer
      - .actual_access:  read_only
        .address_space:  global
        .offset:         88
        .size:           8
        .value_kind:     global_buffer
      - .actual_access:  read_only
        .address_space:  global
        .offset:         96
        .size:           8
        .value_kind:     global_buffer
      - .actual_access:  write_only
        .address_space:  global
        .offset:         104
        .size:           8
        .value_kind:     global_buffer
      - .actual_access:  write_only
        .address_space:  global
        .offset:         112
        .size:           8
        .value_kind:     global_buffer
      - .offset:         120
        .size:           4
        .value_kind:     by_value
      - .offset:         124
        .size:           4
        .value_kind:     by_value
      - .offset:         128
        .size:           4
        .value_kind:     by_value
      - .offset:         132
        .size:           1
        .value_kind:     by_value
      - .offset:         133
        .size:           1
        .value_kind:     by_value
      - .offset:         134
        .size:           1
        .value_kind:     by_value
    .group_segment_fixed_size: 8448
    .kernarg_segment_align: 8
    .kernarg_segment_size: 136
    .language:       OpenCL C
    .language_version:
      - 2
      - 0
    .max_flat_workgroup_size: 256
    .name:           _ZN9rocsparseL29csrgeam_fill_multipass_kernelILj256ELj32Eli21rocsparse_complex_numIdEEEvllNS_24const_host_device_scalarIT3_EEPKT1_PKT2_PKS4_S5_S8_SB_SD_S8_PS9_PS4_21rocsparse_index_base_SG_SG_bbb
    .private_segment_fixed_size: 0
    .sgpr_count:     28
    .sgpr_spill_count: 0
    .symbol:         _ZN9rocsparseL29csrgeam_fill_multipass_kernelILj256ELj32Eli21rocsparse_complex_numIdEEEvllNS_24const_host_device_scalarIT3_EEPKT1_PKT2_PKS4_S5_S8_SB_SD_S8_PS9_PS4_21rocsparse_index_base_SG_SG_bbb.kd
    .uniform_work_group_size: 1
    .uses_dynamic_stack: false
    .vgpr_count:     51
    .vgpr_spill_count: 0
    .wavefront_size: 32
    .workgroup_processor_mode: 1
  - .args:
      - .offset:         0
        .size:           8
        .value_kind:     by_value
      - .offset:         8
        .size:           8
        .value_kind:     by_value
      - .offset:         16
        .size:           16
        .value_kind:     by_value
      - .actual_access:  read_only
        .address_space:  global
        .offset:         32
        .size:           8
        .value_kind:     global_buffer
      - .actual_access:  read_only
        .address_space:  global
        .offset:         40
        .size:           8
        .value_kind:     global_buffer
      - .actual_access:  read_only
        .address_space:  global
        .offset:         48
        .size:           8
        .value_kind:     global_buffer
      - .offset:         56
        .size:           16
        .value_kind:     by_value
      - .actual_access:  read_only
        .address_space:  global
        .offset:         72
        .size:           8
        .value_kind:     global_buffer
      - .actual_access:  read_only
        .address_space:  global
        .offset:         80
        .size:           8
        .value_kind:     global_buffer
      - .actual_access:  read_only
        .address_space:  global
        .offset:         88
        .size:           8
        .value_kind:     global_buffer
      - .actual_access:  read_only
        .address_space:  global
        .offset:         96
        .size:           8
        .value_kind:     global_buffer
      - .actual_access:  write_only
        .address_space:  global
        .offset:         104
        .size:           8
        .value_kind:     global_buffer
      - .actual_access:  write_only
        .address_space:  global
        .offset:         112
        .size:           8
        .value_kind:     global_buffer
      - .offset:         120
        .size:           4
        .value_kind:     by_value
      - .offset:         124
        .size:           4
        .value_kind:     by_value
      - .offset:         128
        .size:           4
        .value_kind:     by_value
      - .offset:         132
        .size:           1
        .value_kind:     by_value
      - .offset:         133
        .size:           1
        .value_kind:     by_value
      - .offset:         134
        .size:           1
        .value_kind:     by_value
    .group_segment_fixed_size: 8448
    .kernarg_segment_align: 8
    .kernarg_segment_size: 136
    .language:       OpenCL C
    .language_version:
      - 2
      - 0
    .max_flat_workgroup_size: 256
    .name:           _ZN9rocsparseL29csrgeam_fill_multipass_kernelILj256ELj64Eli21rocsparse_complex_numIdEEEvllNS_24const_host_device_scalarIT3_EEPKT1_PKT2_PKS4_S5_S8_SB_SD_S8_PS9_PS4_21rocsparse_index_base_SG_SG_bbb
    .private_segment_fixed_size: 0
    .sgpr_count:     28
    .sgpr_spill_count: 0
    .symbol:         _ZN9rocsparseL29csrgeam_fill_multipass_kernelILj256ELj64Eli21rocsparse_complex_numIdEEEvllNS_24const_host_device_scalarIT3_EEPKT1_PKT2_PKS4_S5_S8_SB_SD_S8_PS9_PS4_21rocsparse_index_base_SG_SG_bbb.kd
    .uniform_work_group_size: 1
    .uses_dynamic_stack: false
    .vgpr_count:     52
    .vgpr_spill_count: 0
    .wavefront_size: 32
    .workgroup_processor_mode: 1
  - .args:
      - .offset:         0
        .size:           8
        .value_kind:     by_value
      - .offset:         8
        .size:           8
        .value_kind:     by_value
      - .offset:         16
        .size:           16
        .value_kind:     by_value
      - .actual_access:  read_only
        .address_space:  global
        .offset:         32
        .size:           8
        .value_kind:     global_buffer
      - .actual_access:  read_only
        .address_space:  global
        .offset:         40
        .size:           8
        .value_kind:     global_buffer
      - .actual_access:  read_only
        .address_space:  global
        .offset:         48
        .size:           8
        .value_kind:     global_buffer
      - .offset:         56
        .size:           16
        .value_kind:     by_value
      - .actual_access:  read_only
        .address_space:  global
        .offset:         72
        .size:           8
        .value_kind:     global_buffer
      - .actual_access:  read_only
        .address_space:  global
        .offset:         80
        .size:           8
        .value_kind:     global_buffer
      - .actual_access:  read_only
        .address_space:  global
        .offset:         88
        .size:           8
        .value_kind:     global_buffer
      - .actual_access:  read_only
        .address_space:  global
        .offset:         96
        .size:           8
        .value_kind:     global_buffer
      - .actual_access:  write_only
        .address_space:  global
        .offset:         104
        .size:           8
        .value_kind:     global_buffer
      - .actual_access:  write_only
        .address_space:  global
        .offset:         112
        .size:           8
        .value_kind:     global_buffer
      - .offset:         120
        .size:           4
        .value_kind:     by_value
      - .offset:         124
        .size:           4
        .value_kind:     by_value
      - .offset:         128
        .size:           4
        .value_kind:     by_value
      - .offset:         132
        .size:           1
        .value_kind:     by_value
      - .offset:         133
        .size:           1
        .value_kind:     by_value
      - .offset:         134
        .size:           1
        .value_kind:     by_value
    .group_segment_fixed_size: 8448
    .kernarg_segment_align: 8
    .kernarg_segment_size: 136
    .language:       OpenCL C
    .language_version:
      - 2
      - 0
    .max_flat_workgroup_size: 256
    .name:           _ZN9rocsparseL29csrgeam_fill_multipass_kernelILj256ELj32Ell21rocsparse_complex_numIdEEEvllNS_24const_host_device_scalarIT3_EEPKT1_PKT2_PKS4_S5_S8_SB_SD_S8_PS9_PS4_21rocsparse_index_base_SG_SG_bbb
    .private_segment_fixed_size: 0
    .sgpr_count:     30
    .sgpr_spill_count: 0
    .symbol:         _ZN9rocsparseL29csrgeam_fill_multipass_kernelILj256ELj32Ell21rocsparse_complex_numIdEEEvllNS_24const_host_device_scalarIT3_EEPKT1_PKT2_PKS4_S5_S8_SB_SD_S8_PS9_PS4_21rocsparse_index_base_SG_SG_bbb.kd
    .uniform_work_group_size: 1
    .uses_dynamic_stack: false
    .vgpr_count:     55
    .vgpr_spill_count: 0
    .wavefront_size: 32
    .workgroup_processor_mode: 1
  - .args:
      - .offset:         0
        .size:           8
        .value_kind:     by_value
      - .offset:         8
        .size:           8
        .value_kind:     by_value
      - .offset:         16
        .size:           16
        .value_kind:     by_value
      - .actual_access:  read_only
        .address_space:  global
        .offset:         32
        .size:           8
        .value_kind:     global_buffer
      - .actual_access:  read_only
        .address_space:  global
        .offset:         40
        .size:           8
        .value_kind:     global_buffer
      - .actual_access:  read_only
        .address_space:  global
        .offset:         48
        .size:           8
        .value_kind:     global_buffer
      - .offset:         56
        .size:           16
        .value_kind:     by_value
      - .actual_access:  read_only
        .address_space:  global
        .offset:         72
        .size:           8
        .value_kind:     global_buffer
      - .actual_access:  read_only
        .address_space:  global
        .offset:         80
        .size:           8
        .value_kind:     global_buffer
      - .actual_access:  read_only
        .address_space:  global
        .offset:         88
        .size:           8
        .value_kind:     global_buffer
      - .actual_access:  read_only
        .address_space:  global
        .offset:         96
        .size:           8
        .value_kind:     global_buffer
      - .actual_access:  write_only
        .address_space:  global
        .offset:         104
        .size:           8
        .value_kind:     global_buffer
      - .actual_access:  write_only
        .address_space:  global
        .offset:         112
        .size:           8
        .value_kind:     global_buffer
      - .offset:         120
        .size:           4
        .value_kind:     by_value
      - .offset:         124
        .size:           4
        .value_kind:     by_value
      - .offset:         128
        .size:           4
        .value_kind:     by_value
      - .offset:         132
        .size:           1
        .value_kind:     by_value
      - .offset:         133
        .size:           1
        .value_kind:     by_value
      - .offset:         134
        .size:           1
        .value_kind:     by_value
    .group_segment_fixed_size: 8448
    .kernarg_segment_align: 8
    .kernarg_segment_size: 136
    .language:       OpenCL C
    .language_version:
      - 2
      - 0
    .max_flat_workgroup_size: 256
    .name:           _ZN9rocsparseL29csrgeam_fill_multipass_kernelILj256ELj64Ell21rocsparse_complex_numIdEEEvllNS_24const_host_device_scalarIT3_EEPKT1_PKT2_PKS4_S5_S8_SB_SD_S8_PS9_PS4_21rocsparse_index_base_SG_SG_bbb
    .private_segment_fixed_size: 0
    .sgpr_count:     30
    .sgpr_spill_count: 0
    .symbol:         _ZN9rocsparseL29csrgeam_fill_multipass_kernelILj256ELj64Ell21rocsparse_complex_numIdEEEvllNS_24const_host_device_scalarIT3_EEPKT1_PKT2_PKS4_S5_S8_SB_SD_S8_PS9_PS4_21rocsparse_index_base_SG_SG_bbb.kd
    .uniform_work_group_size: 1
    .uses_dynamic_stack: false
    .vgpr_count:     56
    .vgpr_spill_count: 0
    .wavefront_size: 32
    .workgroup_processor_mode: 1
amdhsa.target:   amdgcn-amd-amdhsa--gfx1100
amdhsa.version:
  - 1
  - 2
...

	.end_amdgpu_metadata
